;; amdgpu-corpus repo=ROCm/rocFFT kind=compiled arch=gfx950 opt=O3
	.text
	.amdgcn_target "amdgcn-amd-amdhsa--gfx950"
	.amdhsa_code_object_version 6
	.protected	bluestein_single_fwd_len1960_dim1_dp_op_CI_CI ; -- Begin function bluestein_single_fwd_len1960_dim1_dp_op_CI_CI
	.globl	bluestein_single_fwd_len1960_dim1_dp_op_CI_CI
	.p2align	8
	.type	bluestein_single_fwd_len1960_dim1_dp_op_CI_CI,@function
bluestein_single_fwd_len1960_dim1_dp_op_CI_CI: ; @bluestein_single_fwd_len1960_dim1_dp_op_CI_CI
; %bb.0:
	s_load_dwordx4 s[4:7], s[0:1], 0x28
	v_mul_u32_u24_e32 v1, 0x493, v0
	v_mov_b32_e32 v175, 0
	v_add_u32_sdwa v6, s2, v1 dst_sel:DWORD dst_unused:UNUSED_PAD src0_sel:DWORD src1_sel:WORD_1
	v_mov_b32_e32 v7, v175
	s_waitcnt lgkmcnt(0)
	v_cmp_gt_u64_e32 vcc, s[4:5], v[6:7]
	s_and_saveexec_b64 s[2:3], vcc
	s_cbranch_execz .LBB0_23
; %bb.1:
	s_load_dwordx4 s[12:15], s[0:1], 0x18
	s_load_dwordx2 s[16:17], s[0:1], 0x0
	v_mov_b32_e32 v4, 56
	v_mul_lo_u16_sdwa v1, v1, v4 dst_sel:DWORD dst_unused:UNUSED_PAD src0_sel:WORD_1 src1_sel:DWORD
	v_sub_u16_e32 v174, v0, v1
	s_waitcnt lgkmcnt(0)
	s_load_dwordx4 s[8:11], s[12:13], 0x0
	v_accvgpr_write_b32 a58, v6
	v_mov_b32_e32 v2, s6
	v_mov_b32_e32 v3, s7
	v_lshlrev_b32_e32 v172, 4, v174
	s_waitcnt lgkmcnt(0)
	v_mad_u64_u32 v[0:1], s[2:3], s10, v6, 0
	v_mov_b32_e32 v4, v1
	v_mad_u64_u32 v[4:5], s[2:3], s11, v6, v[4:5]
	v_mov_b32_e32 v1, v4
	v_mad_u64_u32 v[4:5], s[2:3], s8, v174, 0
	v_mov_b32_e32 v6, v5
	v_mad_u64_u32 v[6:7], s[2:3], s9, v174, v[6:7]
	v_mov_b32_e32 v173, v175
	s_mul_i32 s2, s9, 0x1ea
	s_mul_hi_u32 s3, s8, 0x1ea
	v_mov_b32_e32 v5, v6
	v_lshl_add_u64 v[50:51], v[0:1], 4, v[2:3]
	v_lshl_add_u64 v[76:77], s[16:17], 0, v[172:173]
	s_add_i32 s3, s3, s2
	s_mul_i32 s2, s8, 0x1ea
	s_movk_i32 s4, 0x1000
	v_lshl_add_u64 v[4:5], v[4:5], 4, v[50:51]
	global_load_dwordx4 v[72:75], v172, s[16:17]
	s_lshl_b64 s[2:3], s[2:3], 4
	v_add_co_u32_e32 v56, vcc, s4, v76
	v_lshl_add_u64 v[6:7], v[4:5], 0, s[2:3]
	global_load_dwordx4 v[46:49], v[4:5], off
	global_load_dwordx4 v[0:3], v[6:7], off
	v_addc_co_u32_e32 v57, vcc, 0, v77, vcc
	s_movk_i32 s4, 0x3000
	global_load_dwordx4 v[78:81], v[56:57], off offset:3744
	v_lshl_add_u64 v[8:9], v[6:7], 0, s[2:3]
	v_add_co_u32_e32 v52, vcc, s4, v76
	v_lshl_add_u64 v[12:13], v[8:9], 0, s[2:3]
	s_nop 0
	v_addc_co_u32_e32 v53, vcc, 0, v77, vcc
	s_movk_i32 s4, 0x5000
	v_mov_b32_e32 v66, 0xffffa7a0
	global_load_dwordx4 v[4:7], v[8:9], off
	global_load_dwordx4 v[92:95], v[52:53], off offset:3392
	v_add_co_u32_e32 v54, vcc, s4, v76
	v_mad_u64_u32 v[16:17], s[4:5], s8, v66, v[12:13]
	s_nop 0
	v_addc_co_u32_e32 v55, vcc, 0, v77, vcc
	global_load_dwordx4 v[108:111], v[54:55], off offset:3040
	s_mul_i32 s4, s9, 0xffffa7a0
	global_load_dwordx4 v[8:11], v[12:13], off
	s_sub_i32 s12, s4, s8
	v_add_u32_e32 v17, s12, v17
	s_movk_i32 s4, 0x2000
	global_load_dwordx4 v[12:15], v[16:17], off
	global_load_dwordx4 v[120:123], v172, s[16:17] offset:896
	v_add_co_u32_e32 v58, vcc, s4, v76
	v_lshl_add_u64 v[20:21], v[16:17], 0, s[2:3]
	s_nop 0
	v_addc_co_u32_e32 v59, vcc, 0, v77, vcc
	s_movk_i32 s4, 0x4000
	global_load_dwordx4 v[16:19], v[20:21], off
	global_load_dwordx4 v[124:127], v[58:59], off offset:544
	v_add_co_u32_e32 v60, vcc, s4, v76
	v_lshl_add_u64 v[24:25], v[20:21], 0, s[2:3]
	s_nop 0
	v_addc_co_u32_e32 v61, vcc, 0, v77, vcc
	global_load_dwordx4 v[128:131], v[60:61], off offset:192
	global_load_dwordx4 v[20:23], v[24:25], off
	v_lshl_add_u64 v[28:29], v[24:25], 0, s[2:3]
	global_load_dwordx4 v[24:27], v[28:29], off
	global_load_dwordx4 v[132:135], v[54:55], off offset:3936
	v_mad_u64_u32 v[32:33], s[4:5], s8, v66, v[28:29]
	v_add_u32_e32 v33, s12, v33
	global_load_dwordx4 v[28:31], v[32:33], off
	global_load_dwordx4 v[112:115], v172, s[16:17] offset:1792
	v_lshl_add_u64 v[36:37], v[32:33], 0, s[2:3]
	global_load_dwordx4 v[32:35], v[36:37], off
	global_load_dwordx4 v[100:103], v[58:59], off offset:1440
	v_lshl_add_u64 v[40:41], v[36:37], 0, s[2:3]
	global_load_dwordx4 v[36:39], v[40:41], off
	global_load_dwordx4 v[82:85], v[60:61], off offset:1088
	s_movk_i32 s4, 0x6000
	v_add_co_u32_e32 v62, vcc, s4, v76
	v_lshl_add_u64 v[44:45], v[40:41], 0, s[2:3]
	s_nop 0
	v_addc_co_u32_e32 v63, vcc, 0, v77, vcc
	global_load_dwordx4 v[40:43], v[44:45], off
	global_load_dwordx4 v[96:99], v[62:63], off offset:736
	s_load_dwordx2 s[10:11], s[0:1], 0x38
	s_load_dwordx4 s[4:7], s[14:15], 0x0
	v_mad_u64_u32 v[64:65], s[14:15], s8, v66, v[44:45]
	v_add_u32_e32 v65, s12, v65
	s_movk_i32 s13, 0x7000
	s_waitcnt vmcnt(22)
	v_mul_f64 v[68:69], v[48:49], v[74:75]
	v_mul_f64 v[70:71], v[46:47], v[74:75]
	v_fmac_f64_e32 v[68:69], v[46:47], v[72:73]
	v_fma_f64 v[70:71], v[48:49], v[72:73], -v[70:71]
	global_load_dwordx4 v[44:47], v[64:65], off
	global_load_dwordx4 v[116:119], v172, s[16:17] offset:2688
	ds_write_b128 v172, v[68:71]
	s_waitcnt vmcnt(22)
	v_mul_f64 v[68:69], v[2:3], v[80:81]
	v_fmac_f64_e32 v[68:69], v[0:1], v[78:79]
	v_mul_f64 v[0:1], v[0:1], v[80:81]
	v_fma_f64 v[70:71], v[2:3], v[78:79], -v[0:1]
	scratch_store_dwordx4 off, v[72:75], off offset:240 ; 16-byte Folded Spill
	v_accvgpr_write_b32 a10, v78
	ds_write_b128 v172, v[68:71] offset:7840
	v_lshl_add_u64 v[48:49], v[64:65], 0, s[2:3]
	global_load_dwordx4 v[88:91], v[56:57], off offset:2176
	global_load_dwordx4 v[104:107], v[52:53], off offset:1824
	s_waitcnt vmcnt(23)
	v_mul_f64 v[0:1], v[6:7], v[94:95]
	v_mul_f64 v[2:3], v[4:5], v[94:95]
	v_fmac_f64_e32 v[0:1], v[4:5], v[92:93]
	v_fma_f64 v[2:3], v[6:7], v[92:93], -v[2:3]
	ds_write_b128 v172, v[0:3] offset:15680
	scratch_store_dwordx4 off, v[92:95], off offset:592 ; 16-byte Folded Spill
	v_accvgpr_write_b32 a11, v79
	v_accvgpr_write_b32 a12, v80
	s_waitcnt vmcnt(22)
	v_mul_f64 v[0:1], v[10:11], v[110:111]
	v_mul_f64 v[2:3], v[8:9], v[110:111]
	v_fmac_f64_e32 v[0:1], v[8:9], v[108:109]
	v_fma_f64 v[2:3], v[10:11], v[108:109], -v[2:3]
	v_accvgpr_write_b32 a13, v81
	global_load_dwordx4 v[4:7], v[48:49], off
	global_load_dwordx4 v[78:81], v[58:59], off offset:2336
	ds_write_b128 v172, v[0:3] offset:23520
	s_waitcnt vmcnt(22)
	v_mul_f64 v[0:1], v[14:15], v[122:123]
	v_mul_f64 v[2:3], v[12:13], v[122:123]
	v_fmac_f64_e32 v[0:1], v[12:13], v[120:121]
	v_fma_f64 v[2:3], v[14:15], v[120:121], -v[2:3]
	ds_write_b128 v172, v[0:3] offset:896
	s_waitcnt vmcnt(20)
	v_mul_f64 v[0:1], v[18:19], v[126:127]
	v_mul_f64 v[2:3], v[16:17], v[126:127]
	v_fmac_f64_e32 v[0:1], v[16:17], v[124:125]
	v_fma_f64 v[2:3], v[18:19], v[124:125], -v[2:3]
	ds_write_b128 v172, v[0:3] offset:8736
	scratch_store_dwordx4 off, v[108:111], off offset:576 ; 16-byte Folded Spill
	scratch_store_dwordx4 off, v[120:123], off offset:560 ; 16-byte Folded Spill
	s_waitcnt vmcnt(20)
	v_mul_f64 v[0:1], v[22:23], v[130:131]
	v_mul_f64 v[2:3], v[20:21], v[130:131]
	v_fmac_f64_e32 v[0:1], v[20:21], v[128:129]
	v_fma_f64 v[2:3], v[22:23], v[128:129], -v[2:3]
	ds_write_b128 v172, v[0:3] offset:16576
	s_waitcnt vmcnt(18)
	v_mul_f64 v[0:1], v[26:27], v[134:135]
	v_mul_f64 v[2:3], v[24:25], v[134:135]
	v_fmac_f64_e32 v[0:1], v[24:25], v[132:133]
	v_fma_f64 v[2:3], v[26:27], v[132:133], -v[2:3]
	ds_write_b128 v172, v[0:3] offset:24416
	s_waitcnt vmcnt(16)
	v_mul_f64 v[0:1], v[30:31], v[114:115]
	v_mul_f64 v[2:3], v[28:29], v[114:115]
	v_fmac_f64_e32 v[0:1], v[28:29], v[112:113]
	v_fma_f64 v[2:3], v[30:31], v[112:113], -v[2:3]
	scratch_store_dwordx4 off, v[124:127], off offset:544 ; 16-byte Folded Spill
	scratch_store_dwordx4 off, v[128:131], off offset:528 ; 16-byte Folded Spill
	;; [unrolled: 1-line block ×4, first 2 shown]
	ds_write_b128 v172, v[0:3] offset:1792
	v_lshl_add_u64 v[12:13], v[48:49], 0, s[2:3]
	global_load_dwordx4 v[8:11], v[12:13], off
	global_load_dwordx4 v[156:159], v[60:61], off offset:1984
	s_waitcnt vmcnt(20)
	v_mul_f64 v[0:1], v[34:35], v[102:103]
	v_mul_f64 v[2:3], v[32:33], v[102:103]
	v_fmac_f64_e32 v[0:1], v[32:33], v[100:101]
	v_fma_f64 v[2:3], v[34:35], v[100:101], -v[2:3]
	ds_write_b128 v172, v[0:3] offset:9632
	s_waitcnt vmcnt(18)
	v_mul_f64 v[0:1], v[38:39], v[84:85]
	v_mul_f64 v[2:3], v[36:37], v[84:85]
	scratch_store_dwordx4 off, v[100:103], off offset:464 ; 16-byte Folded Spill
	v_fmac_f64_e32 v[0:1], v[36:37], v[82:83]
	v_lshl_add_u64 v[16:17], v[12:13], 0, s[2:3]
	v_fma_f64 v[2:3], v[38:39], v[82:83], -v[2:3]
	global_load_dwordx4 v[12:15], v[16:17], off
	global_load_dwordx4 v[152:155], v[62:63], off offset:1632
	ds_write_b128 v172, v[0:3] offset:17472
	v_mad_u64_u32 v[2:3], s[14:15], s8, v66, v[16:17]
	scratch_store_dwordx4 off, v[82:85], off offset:416 ; 16-byte Folded Spill
	v_add_u32_e32 v3, s12, v3
	global_load_dwordx4 v[16:19], v[2:3], off
	global_load_dwordx4 v[148:151], v172, s[16:17] offset:3584
	v_lshl_add_u64 v[24:25], v[2:3], 0, s[2:3]
	global_load_dwordx4 v[20:23], v[24:25], off
	global_load_dwordx4 v[144:147], v[58:59], off offset:3232
	s_waitcnt vmcnt(24)
	v_mul_f64 v[0:1], v[42:43], v[98:99]
	v_mul_f64 v[2:3], v[40:41], v[98:99]
	scratch_store_dwordx4 off, v[96:99], off offset:384 ; 16-byte Folded Spill
	v_lshl_add_u64 v[28:29], v[24:25], 0, s[2:3]
	v_fmac_f64_e32 v[0:1], v[40:41], v[96:97]
	v_fma_f64 v[2:3], v[42:43], v[96:97], -v[2:3]
	global_load_dwordx4 v[24:27], v[28:29], off
	global_load_dwordx4 v[140:143], v[60:61], off offset:2880
	ds_write_b128 v172, v[0:3] offset:25312
	v_lshl_add_u64 v[2:3], v[28:29], 0, s[2:3]
	global_load_dwordx4 v[28:31], v[2:3], off
	global_load_dwordx4 v[136:139], v[62:63], off offset:2528
	v_mad_u64_u32 v[2:3], s[14:15], s8, v66, v[2:3]
	v_add_u32_e32 v3, s12, v3
	global_load_dwordx4 v[32:35], v[2:3], off
	global_load_dwordx4 v[132:135], v[56:57], off offset:384
	s_waitcnt vmcnt(29)
	v_mul_f64 v[0:1], v[46:47], v[118:119]
	v_mul_f64 v[40:41], v[44:45], v[118:119]
	v_lshl_add_u64 v[42:43], v[2:3], 0, s[2:3]
	v_fmac_f64_e32 v[0:1], v[44:45], v[116:117]
	global_load_dwordx4 v[36:39], v[42:43], off
	global_load_dwordx4 v[128:131], v[52:53], off offset:32
	v_fma_f64 v[2:3], v[46:47], v[116:117], -v[40:41]
	scratch_store_dwordx4 off, v[116:119], off offset:400 ; 16-byte Folded Spill
	ds_write_b128 v172, v[0:3] offset:2688
	v_lshl_add_u64 v[0:1], v[42:43], 0, s[2:3]
	global_load_dwordx4 v[40:43], v[0:1], off
	global_load_dwordx4 v[124:127], v[60:61], off offset:3776
	v_lshl_add_u64 v[0:1], v[0:1], 0, s[2:3]
	global_load_dwordx4 v[44:47], v[0:1], off
	global_load_dwordx4 v[120:123], v[62:63], off offset:3424
	v_mad_u64_u32 v[0:1], s[14:15], s8, v66, v[0:1]
	v_add_u32_e32 v1, s12, v1
	global_load_dwordx4 v[58:61], v[0:1], off
	global_load_dwordx4 v[116:119], v[56:57], off offset:1280
	v_lshl_add_u64 v[0:1], v[0:1], 0, s[2:3]
	global_load_dwordx4 v[62:65], v[0:1], off
	global_load_dwordx4 v[112:115], v[52:53], off offset:928
	v_lshl_add_u64 v[0:1], v[0:1], 0, s[2:3]
	s_waitcnt vmcnt(34)
	v_mul_f64 v[2:3], v[6:7], v[80:81]
	global_load_dwordx4 v[68:71], v[0:1], off
	global_load_dwordx4 v[108:111], v[54:55], off offset:576
	v_lshl_add_u64 v[48:49], v[0:1], 0, s[2:3]
	v_add_co_u32_e32 v0, vcc, s13, v76
	v_fmac_f64_e32 v[2:3], v[4:5], v[78:79]
	v_mul_f64 v[4:5], v[4:5], v[80:81]
	v_addc_co_u32_e32 v1, vcc, 0, v77, vcc
	global_load_dwordx4 v[72:75], v[48:49], off
	global_load_dwordx4 v[92:95], v[0:1], off offset:224
	v_fma_f64 v[4:5], v[6:7], v[78:79], -v[4:5]
	v_mad_u64_u32 v[6:7], s[14:15], s8, v66, v[48:49]
	v_add_u32_e32 v7, s12, v7
	scratch_store_dwordx2 off, v[76:77], off offset:608 ; 8-byte Folded Spill
	scratch_store_dwordx4 off, v[78:81], off offset:432 ; 16-byte Folded Spill
	global_load_dwordx4 v[76:79], v[6:7], off
	v_lshl_add_u64 v[6:7], v[6:7], 0, s[2:3]
	ds_write_b128 v172, v[2:5] offset:10528
	global_load_dwordx4 v[80:83], v[6:7], off
	v_lshl_add_u64 v[48:49], v[6:7], 0, s[2:3]
	s_mov_b64 s[12:13], 0x1ea
	s_waitcnt vmcnt(34)
	v_mul_f64 v[2:3], v[10:11], v[158:159]
	scratch_store_dwordx4 off, v[156:159], off offset:448 ; 16-byte Folded Spill
	v_fmac_f64_e32 v[2:3], v[8:9], v[156:157]
	v_mul_f64 v[4:5], v[8:9], v[158:159]
	global_load_dwordx4 v[6:9], v[48:49], off
	global_load_dwordx4 v[96:99], v[54:55], off offset:1472
	v_fma_f64 v[4:5], v[10:11], v[156:157], -v[4:5]
	ds_write_b128 v172, v[2:5] offset:18368
	v_lshl_add_u64 v[2:3], v[48:49], 0, s[2:3]
	global_load_dwordx4 v[84:87], v[2:3], off
	global_load_dwordx4 v[100:103], v[0:1], off offset:1120
	s_waitcnt vmcnt(36)
	v_mul_f64 v[10:11], v[14:15], v[154:155]
	v_mul_f64 v[4:5], v[12:13], v[154:155]
	v_fmac_f64_e32 v[10:11], v[12:13], v[152:153]
	v_fma_f64 v[12:13], v[14:15], v[152:153], -v[4:5]
	ds_write_b128 v172, v[10:13] offset:26208
	scratch_store_dwordx4 off, v[152:155], off offset:496 ; 16-byte Folded Spill
	s_waitcnt vmcnt(34)
	v_mul_f64 v[10:11], v[18:19], v[150:151]
	v_mul_f64 v[4:5], v[16:17], v[150:151]
	v_fmac_f64_e32 v[10:11], v[16:17], v[148:149]
	v_fma_f64 v[12:13], v[18:19], v[148:149], -v[4:5]
	ds_write_b128 v172, v[10:13] offset:3584
	s_waitcnt vmcnt(32)
	v_mul_f64 v[10:11], v[22:23], v[146:147]
	v_mul_f64 v[4:5], v[20:21], v[146:147]
	v_fmac_f64_e32 v[10:11], v[20:21], v[144:145]
	v_fma_f64 v[12:13], v[22:23], v[144:145], -v[4:5]
	ds_write_b128 v172, v[10:13] offset:11424
	;; [unrolled: 6-line block ×12, first 2 shown]
	s_waitcnt vmcnt(7)
	v_mul_f64 v[10:11], v[78:79], v[90:91]
	v_mul_f64 v[4:5], v[76:77], v[90:91]
	v_fmac_f64_e32 v[10:11], v[76:77], v[88:89]
	v_fma_f64 v[12:13], v[78:79], v[88:89], -v[4:5]
	s_waitcnt vmcnt(6)
	v_mul_f64 v[4:5], v[80:81], v[106:107]
	ds_write_b128 v172, v[10:13] offset:6272
	v_fma_f64 v[12:13], v[82:83], v[104:105], -v[4:5]
	s_waitcnt vmcnt(3)
	v_mul_f64 v[4:5], v[8:9], v[98:99]
	v_fmac_f64_e32 v[4:5], v[6:7], v[96:97]
	v_mul_f64 v[6:7], v[6:7], v[98:99]
	v_fma_f64 v[6:7], v[8:9], v[96:97], -v[6:7]
	ds_write_b128 v172, v[4:7] offset:21952
	s_waitcnt vmcnt(1)
	v_mul_f64 v[4:5], v[86:87], v[102:103]
	v_mul_f64 v[6:7], v[84:85], v[102:103]
	v_fmac_f64_e32 v[4:5], v[84:85], v[100:101]
	v_fma_f64 v[6:7], v[86:87], v[100:101], -v[6:7]
	v_mul_f64 v[10:11], v[82:83], v[106:107]
	ds_write_b128 v172, v[4:7] offset:29792
	v_or_b32_e32 v4, 0x1c0, v174
	v_mov_b32_e32 v5, v175
	v_fmac_f64_e32 v[10:11], v[80:81], v[104:105]
	v_cmp_gt_u64_e32 vcc, s[12:13], v[4:5]
	v_accvgpr_write_b32 a84, v4
	v_lshlrev_b32_e32 v4, 4, v4
	scratch_store_dwordx4 off, v[148:151], off offset:368 ; 16-byte Folded Spill
	scratch_store_dwordx4 off, v[144:147], off offset:352 ; 16-byte Folded Spill
	;; [unrolled: 1-line block ×14, first 2 shown]
	ds_write_b128 v172, v[10:13] offset:14112
	scratch_store_dwordx4 off, v[96:99], off offset:108 ; 16-byte Folded Spill
	scratch_store_dwordx4 off, v[100:103], off offset:124 ; 16-byte Folded Spill
	scratch_store_dword off, v4, off offset:8 ; 4-byte Folded Spill
	s_and_saveexec_b64 s[12:13], vcc
	s_cbranch_execz .LBB0_3
; %bb.2:
	v_accvgpr_read_b32 v6, a84
	v_mad_u64_u32 v[10:11], s[14:15], s8, v6, 0
	v_mov_b32_e32 v4, v11
	v_mad_u64_u32 v[4:5], s[14:15], s9, v6, v[4:5]
	v_mov_b32_e32 v11, v4
	v_mov_b32_e32 v4, 0xffffc640
	s_mulk_i32 s9, 0xc640
	v_mad_u64_u32 v[12:13], s[14:15], s8, v4, v[2:3]
	s_sub_i32 s8, s9, s8
	v_add_u32_e32 v13, s8, v13
	v_lshl_add_u64 v[18:19], v[10:11], 4, v[50:51]
	v_lshl_add_u64 v[26:27], v[12:13], 0, s[2:3]
	global_load_dwordx4 v[2:5], v[12:13], off
	global_load_dwordx4 v[6:9], v[52:53], off offset:2720
	s_nop 0
	global_load_dwordx4 v[10:13], v[26:27], off
	global_load_dwordx4 v[14:17], v[54:55], off offset:2368
	s_nop 0
	global_load_dwordx4 v[18:21], v[18:19], off
	s_nop 0
	scratch_load_dword v22, off, off offset:8 ; 4-byte Folded Reload
	v_lshl_add_u64 v[30:31], v[26:27], 0, s[2:3]
	s_waitcnt vmcnt(0)
	global_load_dwordx4 v[22:25], v22, s[16:17]
	s_nop 0
	global_load_dwordx4 v[26:29], v[0:1], off offset:2016
	s_nop 0
	global_load_dwordx4 v[30:33], v[30:31], off
	v_mul_f64 v[0:1], v[4:5], v[8:9]
	v_mul_f64 v[8:9], v[2:3], v[8:9]
	v_fmac_f64_e32 v[0:1], v[2:3], v[6:7]
	v_fma_f64 v[2:3], v[4:5], v[6:7], -v[8:9]
	v_mul_f64 v[4:5], v[12:13], v[16:17]
	v_mul_f64 v[6:7], v[10:11], v[16:17]
	ds_write_b128 v172, v[0:3] offset:15008
	v_fmac_f64_e32 v[4:5], v[10:11], v[14:15]
	v_fma_f64 v[6:7], v[12:13], v[14:15], -v[6:7]
	ds_write_b128 v172, v[4:7] offset:22848
	s_waitcnt vmcnt(2)
	v_mul_f64 v[8:9], v[20:21], v[24:25]
	v_mul_f64 v[16:17], v[18:19], v[24:25]
	s_waitcnt vmcnt(0)
	v_mul_f64 v[0:1], v[32:33], v[28:29]
	v_mul_f64 v[2:3], v[30:31], v[28:29]
	v_fmac_f64_e32 v[8:9], v[18:19], v[22:23]
	v_fma_f64 v[10:11], v[20:21], v[22:23], -v[16:17]
	v_fmac_f64_e32 v[0:1], v[30:31], v[26:27]
	v_fma_f64 v[2:3], v[32:33], v[26:27], -v[2:3]
	ds_write_b128 v172, v[8:11] offset:7168
	ds_write_b128 v172, v[0:3] offset:30688
.LBB0_3:
	s_or_b64 exec, exec, s[12:13]
	s_waitcnt lgkmcnt(0)
	; wave barrier
	s_waitcnt lgkmcnt(0)
	ds_read_b128 v[128:131], v172
	ds_read_b128 v[116:119], v172 offset:896
	ds_read_b128 v[132:135], v172 offset:7840
	ds_read_b128 v[112:115], v172 offset:8736
	ds_read_b128 v[140:143], v172 offset:15680
	ds_read_b128 v[124:127], v172 offset:16576
	ds_read_b128 v[136:139], v172 offset:23520
	ds_read_b128 v[120:123], v172 offset:24416
	ds_read_b128 v[96:99], v172 offset:1792
	ds_read_b128 v[84:87], v172 offset:2688
	ds_read_b128 v[100:103], v172 offset:9632
	ds_read_b128 v[80:83], v172 offset:10528
	ds_read_b128 v[108:111], v172 offset:17472
	ds_read_b128 v[92:95], v172 offset:18368
	ds_read_b128 v[104:107], v172 offset:25312
	ds_read_b128 v[88:91], v172 offset:26208
	ds_read_b128 v[64:67], v172 offset:3584
	ds_read_b128 v[52:55], v172 offset:4480
	ds_read_b128 v[68:71], v172 offset:11424
	ds_read_b128 v[48:51], v172 offset:12320
	ds_read_b128 v[76:79], v172 offset:19264
	ds_read_b128 v[60:63], v172 offset:20160
	ds_read_b128 v[72:75], v172 offset:27104
	ds_read_b128 v[56:59], v172 offset:28000
	ds_read_b128 v[32:35], v172 offset:5376
	ds_read_b128 v[12:15], v172 offset:6272
	ds_read_b128 v[36:39], v172 offset:13216
	ds_read_b128 v[0:3], v172 offset:14112
	ds_read_b128 v[44:47], v172 offset:21056
	ds_read_b128 v[24:27], v172 offset:21952
	ds_read_b128 v[40:43], v172 offset:28896
	ds_read_b128 v[16:19], v172 offset:29792
	s_load_dwordx2 s[8:9], s[0:1], 0x8
                                        ; implicit-def: $vgpr4_vgpr5
                                        ; implicit-def: $vgpr28_vgpr29
                                        ; implicit-def: $vgpr20_vgpr21
                                        ; implicit-def: $vgpr8_vgpr9
	s_and_saveexec_b64 s[0:1], vcc
	s_cbranch_execz .LBB0_5
; %bb.4:
	ds_read_b128 v[4:7], v172 offset:7168
	ds_read_b128 v[8:11], v172 offset:15008
	;; [unrolled: 1-line block ×4, first 2 shown]
.LBB0_5:
	s_or_b64 exec, exec, s[0:1]
	s_waitcnt lgkmcnt(0)
	v_add_f64 v[140:141], v[128:129], -v[140:141]
	v_add_f64 v[148:149], v[132:133], -v[136:137]
	v_fma_f64 v[144:145], v[128:129], 2.0, -v[140:141]
	v_fma_f64 v[128:129], v[132:133], 2.0, -v[148:149]
	v_add_f64 v[142:143], v[130:131], -v[142:143]
	v_add_f64 v[150:151], v[134:135], -v[138:139]
	v_add_f64 v[128:129], v[144:145], -v[128:129]
	v_fma_f64 v[146:147], v[130:131], 2.0, -v[142:143]
	v_fma_f64 v[130:131], v[134:135], 2.0, -v[150:151]
	v_fma_f64 v[136:137], v[144:145], 2.0, -v[128:129]
	v_add_f64 v[134:135], v[142:143], v[148:149]
	v_add_f64 v[126:127], v[118:119], -v[126:127]
	v_add_f64 v[144:145], v[112:113], -v[120:121]
	;; [unrolled: 1-line block ×5, first 2 shown]
	v_fma_f64 v[112:113], v[112:113], 2.0, -v[144:145]
	v_add_f64 v[122:123], v[126:127], v[144:145]
	v_fma_f64 v[144:145], v[96:97], 2.0, -v[108:109]
	v_fma_f64 v[96:97], v[100:101], 2.0, -v[148:149]
	v_add_f64 v[110:111], v[98:99], -v[110:111]
	v_add_f64 v[96:97], v[144:145], -v[96:97]
	;; [unrolled: 1-line block ×3, first 2 shown]
	v_fma_f64 v[100:101], v[144:145], 2.0, -v[96:97]
	v_add_f64 v[106:107], v[110:111], v[148:149]
	v_add_f64 v[94:95], v[86:87], -v[94:95]
	v_add_f64 v[144:145], v[80:81], -v[88:89]
	;; [unrolled: 1-line block ×5, first 2 shown]
	v_fma_f64 v[80:81], v[80:81], 2.0, -v[144:145]
	v_add_f64 v[90:91], v[94:95], v[144:145]
	v_fma_f64 v[144:145], v[64:65], 2.0, -v[76:77]
	v_fma_f64 v[64:65], v[68:69], 2.0, -v[148:149]
	v_add_f64 v[78:79], v[66:67], -v[78:79]
	v_add_f64 v[64:65], v[144:145], -v[64:65]
	;; [unrolled: 1-line block ×3, first 2 shown]
	v_fma_f64 v[68:69], v[144:145], 2.0, -v[64:65]
	v_add_f64 v[74:75], v[78:79], v[148:149]
	v_add_f64 v[62:63], v[54:55], -v[62:63]
	v_add_f64 v[144:145], v[48:49], -v[56:57]
	;; [unrolled: 1-line block ×8, first 2 shown]
	v_fma_f64 v[48:49], v[48:49], 2.0, -v[144:145]
	v_add_f64 v[58:59], v[62:63], v[144:145]
	v_fma_f64 v[144:145], v[32:33], 2.0, -v[44:45]
	v_fma_f64 v[32:33], v[36:37], 2.0, -v[148:149]
	v_fma_f64 v[12:13], v[12:13], 2.0, -v[152:153]
	v_fma_f64 v[0:1], v[0:1], 2.0, -v[16:17]
	v_add_f64 v[130:131], v[146:147], -v[130:131]
	v_fma_f64 v[116:117], v[116:117], 2.0, -v[124:125]
	v_fma_f64 v[118:119], v[118:119], 2.0, -v[126:127]
	v_fma_f64 v[114:115], v[114:115], 2.0, -v[120:121]
	v_add_f64 v[32:33], v[144:145], -v[32:33]
	v_add_f64 v[24:25], v[12:13], -v[0:1]
	v_lshl_add_u64 v[188:189], v[174:175], 0, 56
	s_mov_b64 s[0:1], 0x70
	v_fma_f64 v[138:139], v[146:147], 2.0, -v[130:131]
	v_add_f64 v[132:133], v[140:141], -v[150:151]
	v_add_f64 v[112:113], v[116:117], -v[112:113]
	;; [unrolled: 1-line block ×3, first 2 shown]
	v_fma_f64 v[146:147], v[98:99], 2.0, -v[110:111]
	v_fma_f64 v[98:99], v[102:103], 2.0, -v[104:105]
	v_add_f64 v[92:93], v[84:85], -v[92:93]
	v_fma_f64 v[36:37], v[144:145], 2.0, -v[32:33]
	v_fma_f64 v[144:145], v[12:13], 2.0, -v[24:25]
	v_add_f64 v[12:13], v[4:5], -v[20:21]
	v_lshlrev_b32_e32 v20, 6, v174
	v_lshl_add_u64 v[178:179], v[174:175], 0, s[0:1]
	s_mov_b64 s[0:1], 0xa8
	v_fma_f64 v[140:141], v[140:141], 2.0, -v[132:133]
	v_fma_f64 v[142:143], v[142:143], 2.0, -v[134:135]
	;; [unrolled: 1-line block ×4, first 2 shown]
	v_add_f64 v[120:121], v[124:125], -v[120:121]
	v_add_f64 v[98:99], v[146:147], -v[98:99]
	v_fma_f64 v[84:85], v[84:85], 2.0, -v[92:93]
	v_fma_f64 v[86:87], v[86:87], 2.0, -v[94:95]
	;; [unrolled: 1-line block ×3, first 2 shown]
	s_waitcnt lgkmcnt(0)
	; wave barrier
	ds_write_b128 v20, v[136:139]
	ds_write_b128 v20, v[140:143] offset:16
	ds_write_b128 v20, v[128:131] offset:32
	;; [unrolled: 1-line block ×3, first 2 shown]
	v_lshlrev_b32_e32 v20, 6, v188
	v_lshl_add_u64 v[176:177], v[174:175], 0, s[0:1]
	s_mov_b64 s[0:1], 0xe0
	v_fma_f64 v[124:125], v[124:125], 2.0, -v[120:121]
	v_fma_f64 v[126:127], v[126:127], 2.0, -v[122:123]
	v_fma_f64 v[102:103], v[146:147], 2.0, -v[98:99]
	v_add_f64 v[104:105], v[108:109], -v[104:105]
	v_add_f64 v[80:81], v[84:85], -v[80:81]
	;; [unrolled: 1-line block ×3, first 2 shown]
	v_fma_f64 v[146:147], v[66:67], 2.0, -v[78:79]
	v_fma_f64 v[66:67], v[70:71], 2.0, -v[72:73]
	v_add_f64 v[60:61], v[52:53], -v[60:61]
	ds_write_b128 v20, v[116:119]
	ds_write_b128 v20, v[124:127] offset:16
	ds_write_b128 v20, v[112:115] offset:32
	scratch_store_dword off, v20, off offset:16 ; 4-byte Folded Spill
	ds_write_b128 v20, v[120:123] offset:48
	v_lshlrev_b32_e32 v20, 6, v178
	v_lshl_add_u64 v[248:249], v[174:175], 0, s[0:1]
	s_mov_b64 s[0:1], 0x118
	v_fma_f64 v[108:109], v[108:109], 2.0, -v[104:105]
	v_fma_f64 v[110:111], v[110:111], 2.0, -v[106:107]
	;; [unrolled: 1-line block ×4, first 2 shown]
	v_add_f64 v[88:89], v[92:93], -v[88:89]
	v_add_f64 v[66:67], v[146:147], -v[66:67]
	v_fma_f64 v[52:53], v[52:53], 2.0, -v[60:61]
	v_fma_f64 v[54:55], v[54:55], 2.0, -v[62:63]
	;; [unrolled: 1-line block ×3, first 2 shown]
	v_add_f64 v[46:47], v[34:35], -v[46:47]
	v_add_f64 v[40:41], v[38:39], -v[42:43]
	ds_write_b128 v20, v[100:103]
	ds_write_b128 v20, v[108:111] offset:16
	ds_write_b128 v20, v[96:99] offset:32
	scratch_store_dword off, v20, off offset:20 ; 4-byte Folded Spill
	ds_write_b128 v20, v[104:107] offset:48
	v_lshlrev_b32_e32 v20, 6, v176
	v_lshl_add_u64 v[186:187], v[174:175], 0, s[0:1]
	s_mov_b64 s[0:1], 0x150
	v_fma_f64 v[92:93], v[92:93], 2.0, -v[88:89]
	v_fma_f64 v[94:95], v[94:95], 2.0, -v[90:91]
	;; [unrolled: 1-line block ×3, first 2 shown]
	v_add_f64 v[72:73], v[76:77], -v[72:73]
	v_add_f64 v[48:49], v[52:53], -v[48:49]
	;; [unrolled: 1-line block ×3, first 2 shown]
	v_fma_f64 v[146:147], v[34:35], 2.0, -v[46:47]
	v_fma_f64 v[34:35], v[38:39], 2.0, -v[40:41]
	v_add_f64 v[154:155], v[14:15], -v[26:27]
	v_add_f64 v[18:19], v[2:3], -v[18:19]
	ds_write_b128 v20, v[84:87]
	ds_write_b128 v20, v[92:95] offset:16
	ds_write_b128 v20, v[80:83] offset:32
	scratch_store_dword off, v20, off offset:24 ; 4-byte Folded Spill
	ds_write_b128 v20, v[88:91] offset:48
	v_lshlrev_b32_e32 v20, 6, v248
	v_lshl_add_u64 v[184:185], v[174:175], 0, s[0:1]
	s_mov_b64 s[0:1], 0x188
	v_fma_f64 v[76:77], v[76:77], 2.0, -v[72:73]
	v_fma_f64 v[78:79], v[78:79], 2.0, -v[74:75]
	;; [unrolled: 1-line block ×4, first 2 shown]
	v_add_f64 v[56:57], v[60:61], -v[56:57]
	v_add_f64 v[34:35], v[146:147], -v[34:35]
	v_fma_f64 v[14:15], v[14:15], 2.0, -v[154:155]
	v_fma_f64 v[2:3], v[2:3], 2.0, -v[18:19]
	ds_write_b128 v20, v[68:71]
	ds_write_b128 v20, v[76:79] offset:16
	ds_write_b128 v20, v[64:67] offset:32
	v_accvgpr_write_b32 a194, v20
	ds_write_b128 v20, v[72:75] offset:48
	v_lshlrev_b32_e32 v20, 6, v186
	v_lshl_add_u64 v[182:183], v[174:175], 0, s[0:1]
	v_fma_f64 v[60:61], v[60:61], 2.0, -v[56:57]
	v_fma_f64 v[62:63], v[62:63], 2.0, -v[58:59]
	;; [unrolled: 1-line block ×3, first 2 shown]
	v_add_f64 v[40:41], v[44:45], -v[40:41]
	v_add_f64 v[42:43], v[46:47], v[148:149]
	v_add_f64 v[26:27], v[14:15], -v[2:3]
	ds_write_b128 v20, v[52:55]
	ds_write_b128 v20, v[60:63] offset:16
	ds_write_b128 v20, v[48:51] offset:32
	scratch_store_dword off, v20, off offset:28 ; 4-byte Folded Spill
	ds_write_b128 v20, v[56:59] offset:48
	v_lshlrev_b32_e32 v20, 6, v184
	v_fma_f64 v[44:45], v[44:45], 2.0, -v[40:41]
	v_fma_f64 v[46:47], v[46:47], 2.0, -v[42:43]
	;; [unrolled: 1-line block ×3, first 2 shown]
	v_add_f64 v[148:149], v[152:153], -v[18:19]
	v_add_f64 v[150:151], v[154:155], v[16:17]
	ds_write_b128 v20, v[36:39]
	ds_write_b128 v20, v[44:47] offset:16
	ds_write_b128 v20, v[32:35] offset:32
	v_accvgpr_write_b32 a4, v20
	ds_write_b128 v20, v[40:43] offset:48
	v_lshlrev_b32_e32 v20, 6, v182
	v_fma_f64 v[152:153], v[152:153], 2.0, -v[148:149]
	v_fma_f64 v[154:155], v[154:155], 2.0, -v[150:151]
	v_add_f64 v[16:17], v[6:7], -v[22:23]
	v_add_f64 v[14:15], v[8:9], -v[28:29]
	;; [unrolled: 1-line block ×3, first 2 shown]
	ds_write_b128 v20, v[144:147]
	ds_write_b128 v20, v[152:155] offset:16
	ds_write_b128 v20, v[24:27] offset:32
	scratch_store_dword off, v20, off offset:32 ; 4-byte Folded Spill
	ds_write_b128 v20, v[148:151] offset:48
	v_accvgpr_read_b32 v20, a84
	v_add_f64 v[0:1], v[12:13], -v[18:19]
	v_add_f64 v[2:3], v[16:17], v[14:15]
	v_lshlrev_b32_e32 v20, 6, v20
	scratch_store_dword off, v20, off offset:12 ; 4-byte Folded Spill
	s_and_saveexec_b64 s[0:1], vcc
	s_cbranch_execz .LBB0_7
; %bb.6:
	v_fma_f64 v[20:21], v[12:13], 2.0, -v[0:1]
	v_fma_f64 v[12:13], v[4:5], 2.0, -v[12:13]
	;; [unrolled: 1-line block ×3, first 2 shown]
	v_add_f64 v[4:5], v[12:13], -v[4:5]
	v_fma_f64 v[8:9], v[12:13], 2.0, -v[4:5]
	scratch_load_dword v12, off, off offset:12 ; 4-byte Folded Reload
	v_fma_f64 v[22:23], v[16:17], 2.0, -v[2:3]
	v_fma_f64 v[16:17], v[6:7], 2.0, -v[16:17]
	;; [unrolled: 1-line block ×3, first 2 shown]
	v_add_f64 v[6:7], v[16:17], -v[6:7]
	v_fma_f64 v[10:11], v[16:17], 2.0, -v[6:7]
	s_waitcnt vmcnt(0)
	ds_write_b128 v12, v[8:11]
	ds_write_b128 v12, v[20:23] offset:16
	ds_write_b128 v12, v[4:7] offset:32
	;; [unrolled: 1-line block ×3, first 2 shown]
.LBB0_7:
	s_or_b64 exec, exec, s[0:1]
	v_lshlrev_b32_e32 v4, 2, v188
	v_accvgpr_write_b32 a16, v4
	v_lshlrev_b32_e32 v4, 2, v178
	v_and_b32_e32 v169, 3, v174
	v_accvgpr_write_b32 a15, v4
	v_lshlrev_b32_e32 v4, 2, v176
	v_mul_u32_u24_e32 v128, 6, v169
	v_accvgpr_write_b32 a14, v4
	v_lshlrev_b32_e32 v4, 2, v186
	v_lshlrev_b32_e32 v162, 4, v128
	v_accvgpr_write_b32 a34, v4
	s_waitcnt lgkmcnt(0)
	; wave barrier
	s_waitcnt lgkmcnt(0)
	ds_read_b128 v[20:23], v172
	ds_read_b128 v[156:159], v172 offset:4480
	ds_read_b128 v[152:155], v172 offset:8960
	;; [unrolled: 1-line block ×34, first 2 shown]
	global_load_dwordx4 v[128:131], v162, s[8:9] offset:48
	global_load_dwordx4 v[132:135], v162, s[8:9] offset:32
	;; [unrolled: 1-line block ×3, first 2 shown]
	global_load_dwordx4 v[144:147], v162, s[8:9]
	s_mov_b32 s2, 0x37e14327
	s_mov_b32 s0, 0x36b3c0b5
	;; [unrolled: 1-line block ×20, first 2 shown]
	v_lshrrev_b32_e32 v171, 2, v174
	v_mul_u32_u24_e32 v171, 28, v171
	v_or_b32_e32 v171, v171, v169
	v_lshlrev_b32_e32 v171, 4, v171
	v_lshlrev_b32_e32 v255, 2, v174
	s_waitcnt vmcnt(3) lgkmcnt(14)
	v_mul_f64 v[204:205], v[140:141], v[130:131]
	s_waitcnt vmcnt(2)
	v_mul_f64 v[200:201], v[148:149], v[134:135]
	s_waitcnt vmcnt(1)
	;; [unrolled: 2-line block ×3, first 2 shown]
	v_mul_f64 v[160:161], v[158:159], v[146:147]
	v_fma_f64 v[190:191], v[156:157], v[144:145], -v[160:161]
	v_mul_f64 v[192:193], v[156:157], v[146:147]
	v_mul_f64 v[156:157], v[154:155], v[138:139]
	v_fma_f64 v[194:195], v[152:153], v[136:137], -v[156:157]
	v_mul_f64 v[152:153], v[150:151], v[134:135]
	v_fma_f64 v[198:199], v[148:149], v[132:133], -v[152:153]
	v_mul_f64 v[148:149], v[142:143], v[130:131]
	v_fmac_f64_e32 v[200:201], v[150:151], v[132:133]
	v_fma_f64 v[202:203], v[140:141], v[128:129], -v[148:149]
	v_fmac_f64_e32 v[204:205], v[142:143], v[128:129]
	global_load_dwordx4 v[140:143], v162, s[8:9] offset:80
	global_load_dwordx4 v[148:151], v162, s[8:9] offset:64
	v_mul_f64 v[210:211], v[116:117], v[146:147]
	v_mul_f64 v[214:215], v[112:113], v[138:139]
	;; [unrolled: 1-line block ×4, first 2 shown]
	v_fmac_f64_e32 v[222:223], v[106:107], v[128:129]
	v_fmac_f64_e32 v[218:219], v[110:111], v[132:133]
	;; [unrolled: 1-line block ×5, first 2 shown]
	s_waitcnt lgkmcnt(3)
	v_mul_f64 v[154:155], v[36:37], v[134:135]
	v_fmac_f64_e32 v[192:193], v[158:159], v[144:145]
	s_waitcnt lgkmcnt(2)
	v_mul_f64 v[158:159], v[32:33], v[130:131]
	v_fmac_f64_e32 v[158:159], v[34:35], v[128:129]
	v_fmac_f64_e32 v[154:155], v[38:39], v[132:133]
	s_waitcnt lgkmcnt(0)
	; wave barrier
	s_waitcnt lgkmcnt(0)
	v_accvgpr_write_b32 a219, v139
	v_accvgpr_write_b32 a211, v135
	;; [unrolled: 1-line block ×12, first 2 shown]
	s_waitcnt vmcnt(1)
	v_mul_f64 v[238:239], v[120:121], v[142:143]
	s_waitcnt vmcnt(0)
	v_mul_f64 v[152:153], v[126:127], v[150:151]
	v_fma_f64 v[232:233], v[124:125], v[148:149], -v[152:153]
	v_mul_f64 v[234:235], v[124:125], v[150:151]
	v_mul_f64 v[124:125], v[122:123], v[142:143]
	v_fma_f64 v[236:237], v[120:121], v[140:141], -v[124:125]
	v_mul_f64 v[120:121], v[118:119], v[146:147]
	v_fma_f64 v[208:209], v[116:117], v[144:145], -v[120:121]
	;; [unrolled: 2-line block ×6, first 2 shown]
	v_mul_f64 v[226:227], v[100:101], v[150:151]
	v_mul_f64 v[100:101], v[98:99], v[142:143]
	v_fma_f64 v[228:229], v[96:97], v[140:141], -v[100:101]
	v_mul_f64 v[230:231], v[96:97], v[142:143]
	v_mul_f64 v[96:97], v[94:95], v[146:147]
	v_fma_f64 v[206:207], v[92:93], v[144:145], -v[96:97]
	v_mul_f64 v[92:93], v[92:93], v[146:147]
	v_fmac_f64_e32 v[92:93], v[94:95], v[144:145]
	v_mul_f64 v[94:95], v[90:91], v[138:139]
	v_fma_f64 v[94:95], v[88:89], v[136:137], -v[94:95]
	v_mul_f64 v[88:89], v[88:89], v[138:139]
	v_fmac_f64_e32 v[88:89], v[90:91], v[136:137]
	;; [unrolled: 4-line block ×6, first 2 shown]
	v_mul_f64 v[74:75], v[70:71], v[146:147]
	v_fmac_f64_e32 v[230:231], v[98:99], v[140:141]
	v_fma_f64 v[96:97], v[68:69], v[144:145], -v[74:75]
	v_mul_f64 v[98:99], v[68:69], v[146:147]
	v_mul_f64 v[68:69], v[66:67], v[138:139]
	v_fmac_f64_e32 v[226:227], v[102:103], v[148:149]
	v_fma_f64 v[100:101], v[64:65], v[136:137], -v[68:69]
	v_mul_f64 v[102:103], v[64:65], v[138:139]
	v_mul_f64 v[64:65], v[62:63], v[134:135]
	v_fma_f64 v[104:105], v[60:61], v[132:133], -v[64:65]
	v_mul_f64 v[106:107], v[60:61], v[134:135]
	v_mul_f64 v[60:61], v[58:59], v[130:131]
	;; [unrolled: 3-line block ×5, first 2 shown]
	v_fmac_f64_e32 v[238:239], v[122:123], v[140:141]
	v_fma_f64 v[120:121], v[44:45], v[144:145], -v[48:49]
	v_mul_f64 v[122:123], v[44:45], v[146:147]
	v_mul_f64 v[44:45], v[42:43], v[138:139]
	v_fmac_f64_e32 v[234:235], v[126:127], v[148:149]
	v_fma_f64 v[124:125], v[40:41], v[136:137], -v[44:45]
	v_mul_f64 v[126:127], v[40:41], v[138:139]
	v_mul_f64 v[40:41], v[38:39], v[134:135]
	v_fma_f64 v[152:153], v[36:37], v[132:133], -v[40:41]
	v_mul_f64 v[36:37], v[34:35], v[130:131]
	v_fma_f64 v[156:157], v[32:33], v[128:129], -v[36:37]
	;; [unrolled: 2-line block ×3, first 2 shown]
	v_mul_f64 v[162:163], v[28:29], v[150:151]
	v_mul_f64 v[28:29], v[26:27], v[142:143]
	v_fma_f64 v[164:165], v[24:25], v[140:141], -v[28:29]
	v_mul_f64 v[166:167], v[24:25], v[142:143]
	v_add_f64 v[24:25], v[190:191], v[236:237]
	v_add_f64 v[32:33], v[194:195], v[232:233]
	v_fmac_f64_e32 v[166:167], v[26:27], v[140:141]
	v_add_f64 v[26:27], v[192:193], v[238:239]
	v_add_f64 v[34:35], v[196:197], v[234:235]
	;; [unrolled: 1-line block ×4, first 2 shown]
	v_fmac_f64_e32 v[118:119], v[50:51], v[140:141]
	v_fmac_f64_e32 v[126:127], v[42:43], v[136:137]
	v_add_f64 v[42:43], v[200:201], v[204:205]
	v_add_f64 v[50:51], v[34:35], v[26:27]
	v_add_f64 v[52:53], v[32:33], -v[24:25]
	v_add_f64 v[24:25], v[24:25], -v[40:41]
	;; [unrolled: 1-line block ×3, first 2 shown]
	v_add_f64 v[40:41], v[40:41], v[48:49]
	v_fmac_f64_e32 v[114:115], v[54:55], v[148:149]
	v_fmac_f64_e32 v[122:123], v[46:47], v[144:145]
	;; [unrolled: 1-line block ×3, first 2 shown]
	v_add_f64 v[30:31], v[192:193], -v[238:239]
	v_add_f64 v[36:37], v[194:195], -v[232:233]
	;; [unrolled: 1-line block ×8, first 2 shown]
	v_add_f64 v[42:43], v[42:43], v[50:51]
	v_add_f64 v[20:21], v[20:21], v[40:41]
	v_fmac_f64_e32 v[106:107], v[62:63], v[132:133]
	v_fmac_f64_e32 v[110:111], v[58:59], v[128:129]
	v_add_f64 v[28:29], v[190:191], -v[236:237]
	v_add_f64 v[56:57], v[44:45], v[36:37]
	v_add_f64 v[58:59], v[46:47], v[38:39]
	v_add_f64 v[60:61], v[44:45], -v[36:37]
	v_add_f64 v[62:63], v[46:47], -v[38:39]
	;; [unrolled: 1-line block ×3, first 2 shown]
	v_add_f64 v[22:23], v[22:23], v[42:43]
	v_mov_b64_e32 v[64:65], v[20:21]
	v_add_f64 v[44:45], v[28:29], -v[44:45]
	v_add_f64 v[46:47], v[30:31], -v[46:47]
	;; [unrolled: 1-line block ×3, first 2 shown]
	v_add_f64 v[28:29], v[56:57], v[28:29]
	v_add_f64 v[30:31], v[58:59], v[30:31]
	v_mul_f64 v[24:25], v[24:25], s[2:3]
	v_mul_f64 v[26:27], v[26:27], s[2:3]
	;; [unrolled: 1-line block ×7, first 2 shown]
	v_fmac_f64_e32 v[64:65], s[18:19], v[40:41]
	v_mov_b64_e32 v[40:41], v[22:23]
	v_mul_f64 v[60:61], v[36:37], s[12:13]
	v_fmac_f64_e32 v[40:41], s[18:19], v[42:43]
	v_fma_f64 v[42:43], v[52:53], s[20:21], -v[48:49]
	v_fma_f64 v[48:49], v[54:55], s[20:21], -v[50:51]
	;; [unrolled: 1-line block ×3, first 2 shown]
	v_fmac_f64_e32 v[24:25], s[0:1], v[32:33]
	v_fma_f64 v[32:33], v[54:55], s[22:23], -v[26:27]
	v_fmac_f64_e32 v[26:27], s[0:1], v[34:35]
	v_fma_f64 v[52:53], v[36:37], s[12:13], -v[56:57]
	v_fmac_f64_e32 v[56:57], s[24:25], v[44:45]
	v_fma_f64 v[36:37], v[38:39], s[12:13], -v[58:59]
	v_fmac_f64_e32 v[58:59], s[24:25], v[46:47]
	v_fma_f64 v[46:47], v[46:47], s[28:29], -v[62:63]
	v_fma_f64 v[44:45], v[44:45], s[28:29], -v[60:61]
	v_add_f64 v[60:61], v[26:27], v[40:41]
	v_add_f64 v[38:39], v[42:43], v[64:65]
	;; [unrolled: 1-line block ×4, first 2 shown]
	v_fmac_f64_e32 v[56:57], s[26:27], v[28:29]
	v_fmac_f64_e32 v[46:47], s[26:27], v[30:31]
	v_add_f64 v[54:55], v[24:25], v[64:65]
	v_add_f64 v[50:51], v[32:33], v[40:41]
	v_fmac_f64_e32 v[58:59], s[26:27], v[30:31]
	v_fmac_f64_e32 v[52:53], s[26:27], v[28:29]
	;; [unrolled: 1-line block ×4, first 2 shown]
	v_add_f64 v[26:27], v[60:61], -v[56:57]
	v_add_f64 v[28:29], v[46:47], v[48:49]
	v_add_f64 v[40:41], v[48:49], -v[46:47]
	v_add_f64 v[46:47], v[56:57], v[60:61]
	v_add_f64 v[48:49], v[208:209], v[228:229]
	;; [unrolled: 1-line block ×4, first 2 shown]
	v_add_f64 v[30:31], v[50:51], -v[44:45]
	v_add_f64 v[32:33], v[38:39], -v[36:37]
	v_add_f64 v[34:35], v[52:53], v[42:43]
	v_add_f64 v[36:37], v[36:37], v[38:39]
	v_add_f64 v[38:39], v[42:43], -v[52:53]
	v_add_f64 v[42:43], v[44:45], v[50:51]
	v_add_f64 v[44:45], v[54:55], -v[58:59]
	v_add_f64 v[50:51], v[210:211], v[230:231]
	v_add_f64 v[58:59], v[214:215], v[226:227]
	;; [unrolled: 1-line block ×4, first 2 shown]
	v_fmac_f64_e32 v[102:103], v[66:67], v[136:137]
	v_add_f64 v[66:67], v[218:219], v[222:223]
	v_add_f64 v[190:191], v[58:59], v[50:51]
	v_add_f64 v[192:193], v[56:57], -v[48:49]
	v_add_f64 v[48:49], v[48:49], -v[64:65]
	;; [unrolled: 1-line block ×3, first 2 shown]
	v_add_f64 v[64:65], v[64:65], v[74:75]
	v_fmac_f64_e32 v[98:99], v[70:71], v[144:145]
	v_add_f64 v[52:53], v[208:209], -v[228:229]
	v_add_f64 v[54:55], v[210:211], -v[230:231]
	;; [unrolled: 1-line block ×9, first 2 shown]
	v_add_f64 v[66:67], v[66:67], v[190:191]
	v_add_f64 v[16:17], v[16:17], v[64:65]
	;; [unrolled: 1-line block ×4, first 2 shown]
	v_add_f64 v[200:201], v[68:69], -v[60:61]
	v_add_f64 v[202:203], v[70:71], -v[62:63]
	;; [unrolled: 1-line block ×4, first 2 shown]
	v_add_f64 v[18:19], v[18:19], v[66:67]
	v_mov_b64_e32 v[204:205], v[16:17]
	v_add_f64 v[68:69], v[52:53], -v[68:69]
	v_add_f64 v[70:71], v[54:55], -v[70:71]
	v_add_f64 v[52:53], v[196:197], v[52:53]
	v_add_f64 v[54:55], v[198:199], v[54:55]
	v_mul_f64 v[48:49], v[48:49], s[2:3]
	v_mul_f64 v[50:51], v[50:51], s[2:3]
	;; [unrolled: 1-line block ×8, first 2 shown]
	v_fmac_f64_e32 v[204:205], s[18:19], v[64:65]
	v_mov_b64_e32 v[64:65], v[18:19]
	v_fmac_f64_e32 v[64:65], s[18:19], v[66:67]
	v_fma_f64 v[66:67], v[192:193], s[20:21], -v[74:75]
	v_fma_f64 v[74:75], v[194:195], s[20:21], -v[190:191]
	;; [unrolled: 1-line block ×3, first 2 shown]
	v_fmac_f64_e32 v[48:49], s[0:1], v[56:57]
	v_fma_f64 v[56:57], v[194:195], s[22:23], -v[50:51]
	v_fma_f64 v[192:193], v[60:61], s[12:13], -v[196:197]
	v_fmac_f64_e32 v[196:197], s[24:25], v[68:69]
	v_fma_f64 v[60:61], v[62:63], s[12:13], -v[198:199]
	v_fmac_f64_e32 v[198:199], s[24:25], v[70:71]
	v_fma_f64 v[68:69], v[68:69], s[28:29], -v[200:201]
	v_fma_f64 v[70:71], v[70:71], s[28:29], -v[202:203]
	v_fmac_f64_e32 v[50:51], s[0:1], v[58:59]
	v_add_f64 v[62:63], v[66:67], v[204:205]
	v_add_f64 v[66:67], v[74:75], v[64:65]
	;; [unrolled: 1-line block ×4, first 2 shown]
	v_fmac_f64_e32 v[192:193], s[26:27], v[52:53]
	v_fmac_f64_e32 v[60:61], s[26:27], v[54:55]
	v_fmac_f64_e32 v[68:69], s[26:27], v[52:53]
	v_fmac_f64_e32 v[70:71], s[26:27], v[54:55]
	v_add_f64 v[200:201], v[50:51], v[64:65]
	v_fmac_f64_e32 v[196:197], s[26:27], v[52:53]
	v_fmac_f64_e32 v[198:199], s[26:27], v[54:55]
	v_add_f64 v[52:53], v[70:71], v[74:75]
	v_add_f64 v[54:55], v[190:191], -v[68:69]
	v_add_f64 v[56:57], v[62:63], -v[60:61]
	v_add_f64 v[58:59], v[192:193], v[66:67]
	v_add_f64 v[60:61], v[60:61], v[62:63]
	v_add_f64 v[62:63], v[66:67], -v[192:193]
	v_add_f64 v[64:65], v[74:75], -v[70:71]
	v_add_f64 v[66:67], v[68:69], v[190:191]
	v_add_f64 v[74:75], v[206:207], v[78:79]
	;; [unrolled: 1-line block ×3, first 2 shown]
	v_add_f64 v[72:73], v[92:93], -v[72:73]
	v_add_f64 v[92:93], v[94:95], v[82:83]
	v_add_f64 v[192:193], v[88:89], v[76:77]
	v_add_f64 v[82:83], v[94:95], -v[82:83]
	v_add_f64 v[76:77], v[88:89], -v[76:77]
	v_add_f64 v[88:89], v[90:91], v[86:87]
	v_add_f64 v[94:95], v[84:85], v[80:81]
	v_add_f64 v[80:81], v[80:81], -v[84:85]
	v_add_f64 v[84:85], v[92:93], v[74:75]
	v_add_f64 v[194:195], v[48:49], v[204:205]
	;; [unrolled: 3-line block ×3, first 2 shown]
	v_add_f64 v[48:49], v[198:199], v[194:195]
	v_add_f64 v[68:69], v[194:195], -v[198:199]
	v_add_f64 v[194:195], v[92:93], -v[74:75]
	;; [unrolled: 1-line block ×4, first 2 shown]
	v_add_f64 v[88:89], v[94:95], v[90:91]
	v_add_f64 v[12:13], v[12:13], v[84:85]
	v_add_f64 v[50:51], v[200:201], -v[196:197]
	v_add_f64 v[70:71], v[196:197], v[200:201]
	v_add_f64 v[78:79], v[206:207], -v[78:79]
	v_add_f64 v[196:197], v[192:193], -v[190:191]
	;; [unrolled: 1-line block ×4, first 2 shown]
	v_add_f64 v[198:199], v[86:87], v[82:83]
	v_add_f64 v[200:201], v[80:81], v[76:77]
	v_add_f64 v[202:203], v[86:87], -v[82:83]
	v_add_f64 v[204:205], v[80:81], -v[76:77]
	v_add_f64 v[14:15], v[14:15], v[88:89]
	v_mov_b64_e32 v[206:207], v[12:13]
	v_add_f64 v[86:87], v[78:79], -v[86:87]
	v_add_f64 v[80:81], v[72:73], -v[80:81]
	;; [unrolled: 1-line block ×4, first 2 shown]
	v_add_f64 v[78:79], v[198:199], v[78:79]
	v_add_f64 v[72:73], v[200:201], v[72:73]
	v_mul_f64 v[74:75], v[74:75], s[2:3]
	v_mul_f64 v[90:91], v[190:191], s[2:3]
	;; [unrolled: 1-line block ×6, first 2 shown]
	v_fmac_f64_e32 v[206:207], s[18:19], v[84:85]
	v_mov_b64_e32 v[84:85], v[14:15]
	v_mul_f64 v[202:203], v[82:83], s[12:13]
	v_fmac_f64_e32 v[84:85], s[18:19], v[88:89]
	v_fma_f64 v[88:89], v[194:195], s[20:21], -v[94:95]
	v_fma_f64 v[94:95], v[196:197], s[20:21], -v[190:191]
	;; [unrolled: 1-line block ×3, first 2 shown]
	v_fmac_f64_e32 v[74:75], s[0:1], v[92:93]
	v_fma_f64 v[92:93], v[196:197], s[22:23], -v[90:91]
	v_fmac_f64_e32 v[90:91], s[0:1], v[192:193]
	v_fma_f64 v[192:193], v[82:83], s[12:13], -v[198:199]
	v_fma_f64 v[194:195], v[76:77], s[12:13], -v[200:201]
	v_mul_f64 v[204:205], v[76:77], s[12:13]
	v_fmac_f64_e32 v[198:199], s[24:25], v[86:87]
	v_fma_f64 v[196:197], v[86:87], s[28:29], -v[202:203]
	v_add_f64 v[208:209], v[90:91], v[84:85]
	v_add_f64 v[86:87], v[88:89], v[206:207]
	;; [unrolled: 1-line block ×4, first 2 shown]
	v_fmac_f64_e32 v[192:193], s[26:27], v[78:79]
	v_fmac_f64_e32 v[194:195], s[26:27], v[72:73]
	v_add_f64 v[190:191], v[96:97], v[116:117]
	v_add_f64 v[96:97], v[96:97], -v[116:117]
	v_add_f64 v[116:117], v[100:101], v[112:113]
	ds_write_b128 v171, v[20:23]
	ds_write_b128 v171, v[24:27] offset:64
	ds_write_b128 v171, v[28:31] offset:128
	;; [unrolled: 1-line block ×5, first 2 shown]
	v_lshrrev_b32_e32 v20, 2, v188
	v_fmac_f64_e32 v[200:201], s[24:25], v[80:81]
	v_fma_f64 v[202:203], v[80:81], s[28:29], -v[204:205]
	v_add_f64 v[92:93], v[92:93], v[84:85]
	v_add_f64 v[80:81], v[86:87], -v[194:195]
	v_add_f64 v[82:83], v[192:193], v[88:89]
	v_add_f64 v[84:85], v[194:195], v[86:87]
	v_add_f64 v[86:87], v[88:89], -v[192:193]
	v_add_f64 v[192:193], v[98:99], v[118:119]
	v_add_f64 v[98:99], v[98:99], -v[118:119]
	v_add_f64 v[118:119], v[102:103], v[114:115]
	v_add_f64 v[100:101], v[100:101], -v[112:113]
	v_add_f64 v[112:113], v[104:105], v[108:109]
	v_add_f64 v[104:105], v[108:109], -v[104:105]
	v_add_f64 v[108:109], v[116:117], v[190:191]
	v_mul_u32_u24_e32 v20, 28, v20
	v_add_f64 v[102:103], v[102:103], -v[114:115]
	v_add_f64 v[114:115], v[106:107], v[110:111]
	v_add_f64 v[106:107], v[110:111], -v[106:107]
	v_add_f64 v[110:111], v[118:119], v[192:193]
	v_add_f64 v[108:109], v[112:113], v[108:109]
	v_or_b32_e32 v20, v20, v169
	v_fmac_f64_e32 v[196:197], s[26:27], v[78:79]
	v_fmac_f64_e32 v[202:203], s[26:27], v[72:73]
	v_add_f64 v[110:111], v[114:115], v[110:111]
	v_add_f64 v[8:9], v[8:9], v[108:109]
	v_lshlrev_b32_e32 v20, 4, v20
	v_add_f64 v[204:205], v[74:75], v[206:207]
	v_fmac_f64_e32 v[198:199], s[26:27], v[78:79]
	v_fmac_f64_e32 v[200:201], s[26:27], v[72:73]
	v_add_f64 v[76:77], v[202:203], v[90:91]
	v_add_f64 v[78:79], v[92:93], -v[196:197]
	v_add_f64 v[88:89], v[90:91], -v[202:203]
	v_add_f64 v[90:91], v[196:197], v[92:93]
	v_add_f64 v[194:195], v[116:117], -v[190:191]
	v_add_f64 v[196:197], v[118:119], -v[192:193]
	;; [unrolled: 1-line block ×6, first 2 shown]
	v_add_f64 v[10:11], v[10:11], v[110:111]
	v_mov_b64_e32 v[206:207], v[8:9]
	scratch_store_dword off, v171, off offset:36 ; 4-byte Folded Spill
	ds_write_b128 v171, v[44:47] offset:384
	ds_write_b128 v20, v[16:19]
	ds_write_b128 v20, v[48:51] offset:64
	ds_write_b128 v20, v[52:55] offset:128
	;; [unrolled: 1-line block ×5, first 2 shown]
	v_lshrrev_b32_e32 v16, 2, v178
	v_add_f64 v[72:73], v[200:201], v[204:205]
	v_add_f64 v[74:75], v[208:209], -v[198:199]
	v_add_f64 v[92:93], v[204:205], -v[200:201]
	v_add_f64 v[94:95], v[198:199], v[208:209]
	v_add_f64 v[198:199], v[104:105], v[100:101]
	;; [unrolled: 1-line block ×3, first 2 shown]
	v_add_f64 v[202:203], v[104:105], -v[100:101]
	v_add_f64 v[204:205], v[106:107], -v[102:103]
	v_add_f64 v[100:101], v[100:101], -v[96:97]
	v_add_f64 v[102:103], v[102:103], -v[98:99]
	v_mul_f64 v[112:113], v[190:191], s[2:3]
	v_mul_f64 v[114:115], v[192:193], s[2:3]
	v_mul_f64 v[190:191], v[116:117], s[0:1]
	v_mul_f64 v[192:193], v[118:119], s[0:1]
	v_fmac_f64_e32 v[206:207], s[18:19], v[108:109]
	v_mov_b64_e32 v[108:109], v[10:11]
	v_mul_u32_u24_e32 v16, 28, v16
	v_add_f64 v[104:105], v[96:97], -v[104:105]
	v_add_f64 v[106:107], v[98:99], -v[106:107]
	v_add_f64 v[96:97], v[198:199], v[96:97]
	v_add_f64 v[98:99], v[200:201], v[98:99]
	v_mul_f64 v[198:199], v[202:203], s[14:15]
	v_mul_f64 v[200:201], v[204:205], s[14:15]
	;; [unrolled: 1-line block ×4, first 2 shown]
	v_fmac_f64_e32 v[108:109], s[18:19], v[110:111]
	v_fma_f64 v[110:111], v[194:195], s[20:21], -v[190:191]
	v_fma_f64 v[190:191], v[196:197], s[20:21], -v[192:193]
	;; [unrolled: 1-line block ×3, first 2 shown]
	v_fmac_f64_e32 v[112:113], s[0:1], v[116:117]
	v_or_b32_e32 v16, v16, v169
	v_fma_f64 v[116:117], v[196:197], s[22:23], -v[114:115]
	v_fmac_f64_e32 v[114:115], s[0:1], v[118:119]
	v_fma_f64 v[118:119], v[100:101], s[12:13], -v[198:199]
	v_fmac_f64_e32 v[198:199], s[24:25], v[104:105]
	v_fma_f64 v[194:195], v[102:103], s[12:13], -v[200:201]
	v_fma_f64 v[196:197], v[104:105], s[28:29], -v[202:203]
	;; [unrolled: 1-line block ×3, first 2 shown]
	v_add_f64 v[204:205], v[112:113], v[206:207]
	v_add_f64 v[112:113], v[190:191], v[108:109]
	;; [unrolled: 1-line block ×3, first 2 shown]
	v_add_f64 v[120:121], v[120:121], -v[164:165]
	v_add_f64 v[164:165], v[124:125], v[160:161]
	v_lshlrev_b32_e32 v16, 4, v16
	v_fmac_f64_e32 v[200:201], s[24:25], v[106:107]
	v_add_f64 v[208:209], v[114:115], v[108:109]
	v_add_f64 v[110:111], v[110:111], v[206:207]
	;; [unrolled: 1-line block ×3, first 2 shown]
	v_fmac_f64_e32 v[198:199], s[26:27], v[96:97]
	v_fmac_f64_e32 v[118:119], s[26:27], v[96:97]
	;; [unrolled: 1-line block ×3, first 2 shown]
	v_add_f64 v[192:193], v[122:123], v[166:167]
	v_add_f64 v[122:123], v[122:123], -v[166:167]
	v_add_f64 v[166:167], v[126:127], v[162:163]
	v_add_f64 v[124:125], v[124:125], -v[160:161]
	;; [unrolled: 2-line block ×3, first 2 shown]
	v_add_f64 v[156:157], v[164:165], v[190:191]
	scratch_store_dword off, v20, off offset:40 ; 4-byte Folded Spill
	ds_write_b128 v20, v[68:71] offset:384
	ds_write_b128 v16, v[12:15]
	ds_write_b128 v16, v[72:75] offset:64
	ds_write_b128 v16, v[76:79] offset:128
	ds_write_b128 v16, v[80:83] offset:192
	ds_write_b128 v16, v[84:87] offset:256
	ds_write_b128 v16, v[88:91] offset:320
	v_lshrrev_b32_e32 v12, 2, v176
	v_add_f64 v[116:117], v[116:117], v[108:109]
	v_fmac_f64_e32 v[200:201], s[26:27], v[98:99]
	v_fmac_f64_e32 v[196:197], s[26:27], v[96:97]
	;; [unrolled: 1-line block ×3, first 2 shown]
	v_add_f64 v[98:99], v[208:209], -v[198:199]
	v_add_f64 v[104:105], v[110:111], -v[194:195]
	v_add_f64 v[106:107], v[118:119], v[112:113]
	v_add_f64 v[108:109], v[194:195], v[110:111]
	v_add_f64 v[110:111], v[112:113], -v[118:119]
	v_add_f64 v[118:119], v[198:199], v[208:209]
	v_add_f64 v[126:127], v[126:127], -v[162:163]
	;; [unrolled: 2-line block ×3, first 2 shown]
	v_add_f64 v[158:159], v[166:167], v[192:193]
	v_add_f64 v[198:199], v[152:153], v[124:125]
	;; [unrolled: 1-line block ×3, first 2 shown]
	v_mul_u32_u24_e32 v12, 28, v12
	v_add_f64 v[96:97], v[200:201], v[204:205]
	v_add_f64 v[100:101], v[202:203], v[114:115]
	v_add_f64 v[102:103], v[116:117], -v[196:197]
	v_add_f64 v[112:113], v[114:115], -v[202:203]
	v_add_f64 v[114:115], v[196:197], v[116:117]
	v_add_f64 v[116:117], v[204:205], -v[200:201]
	v_add_f64 v[194:195], v[164:165], -v[190:191]
	;; [unrolled: 1-line block ×4, first 2 shown]
	v_add_f64 v[200:201], v[154:155], v[126:127]
	v_add_f64 v[202:203], v[152:153], -v[124:125]
	v_add_f64 v[152:153], v[120:121], -v[152:153]
	;; [unrolled: 1-line block ×3, first 2 shown]
	v_add_f64 v[158:159], v[162:163], v[158:159]
	v_add_f64 v[160:161], v[198:199], v[120:121]
	;; [unrolled: 1-line block ×3, first 2 shown]
	v_or_b32_e32 v12, v12, v169
	v_add_f64 v[196:197], v[166:167], -v[192:193]
	v_add_f64 v[192:193], v[192:193], -v[162:163]
	;; [unrolled: 1-line block ×6, first 2 shown]
	v_add_f64 v[162:163], v[200:201], v[122:123]
	v_add_f64 v[122:123], v[6:7], v[158:159]
	v_mov_b64_e32 v[206:207], v[120:121]
	v_lshlrev_b32_e32 v12, 4, v12
	v_mul_f64 v[4:5], v[190:191], s[2:3]
	v_mul_f64 v[6:7], v[192:193], s[2:3]
	;; [unrolled: 1-line block ×8, first 2 shown]
	v_fmac_f64_e32 v[206:207], s[18:19], v[156:157]
	v_mov_b64_e32 v[156:157], v[122:123]
	scratch_store_dword off, v16, off offset:48 ; 4-byte Folded Spill
	ds_write_b128 v16, v[92:95] offset:384
	ds_write_b128 v12, v[8:11]
	ds_write_b128 v12, v[96:99] offset:64
	ds_write_b128 v12, v[100:103] offset:128
	;; [unrolled: 1-line block ×5, first 2 shown]
	v_lshrrev_b32_e32 v8, 2, v248
	v_fmac_f64_e32 v[156:157], s[18:19], v[158:159]
	v_fma_f64 v[158:159], s[0:1], v[164:165], v[4:5]
	v_fma_f64 v[164:165], v[194:195], s[20:21], -v[190:191]
	v_fma_f64 v[190:191], v[196:197], s[20:21], -v[192:193]
	;; [unrolled: 1-line block ×4, first 2 shown]
	v_fmac_f64_e32 v[6:7], s[0:1], v[166:167]
	v_fma_f64 v[194:195], s[24:25], v[152:153], v[198:199]
	v_fma_f64 v[166:167], v[124:125], s[12:13], -v[198:199]
	v_fma_f64 v[196:197], v[126:127], s[12:13], -v[200:201]
	v_fmac_f64_e32 v[200:201], s[24:25], v[154:155]
	v_fma_f64 v[198:199], v[152:153], s[28:29], -v[202:203]
	v_fma_f64 v[202:203], v[154:155], s[28:29], -v[204:205]
	v_mul_u32_u24_e32 v8, 28, v8
	v_add_f64 v[204:205], v[158:159], v[206:207]
	v_add_f64 v[6:7], v[6:7], v[156:157]
	;; [unrolled: 1-line block ×6, first 2 shown]
	v_fmac_f64_e32 v[194:195], s[26:27], v[160:161]
	v_fmac_f64_e32 v[200:201], s[26:27], v[162:163]
	;; [unrolled: 1-line block ×6, first 2 shown]
	v_or_b32_e32 v8, v8, v169
	v_add_f64 v[124:125], v[200:201], v[204:205]
	v_add_f64 v[126:127], v[6:7], -v[194:195]
	v_add_f64 v[152:153], v[202:203], v[4:5]
	v_add_f64 v[154:155], v[192:193], -v[198:199]
	v_add_f64 v[156:157], v[164:165], -v[196:197]
	v_add_f64 v[158:159], v[166:167], v[190:191]
	v_add_f64 v[160:161], v[196:197], v[164:165]
	v_add_f64 v[162:163], v[190:191], -v[166:167]
	v_add_f64 v[164:165], v[4:5], -v[202:203]
	v_add_f64 v[166:167], v[198:199], v[192:193]
	v_add_f64 v[4:5], v[204:205], -v[200:201]
	v_add_f64 v[6:7], v[194:195], v[6:7]
	v_lshlrev_b32_e32 v8, 4, v8
	scratch_store_dword off, v12, off offset:52 ; 4-byte Folded Spill
	ds_write_b128 v12, v[116:119] offset:384
	ds_write_b128 v8, v[120:123]
	ds_write_b128 v8, v[124:127] offset:64
	ds_write_b128 v8, v[152:155] offset:128
	ds_write_b128 v8, v[156:159] offset:192
	ds_write_b128 v8, v[160:163] offset:256
	ds_write_b128 v8, v[164:167] offset:320
	scratch_store_dword off, v8, off offset:56 ; 4-byte Folded Spill
	ds_write_b128 v8, v[4:7] offset:384
	s_waitcnt lgkmcnt(0)
	; wave barrier
	s_waitcnt lgkmcnt(0)
	ds_read_b128 v[72:75], v172
	ds_read_b128 v[92:95], v172 offset:15680
	ds_read_b128 v[68:71], v172 offset:896
	;; [unrolled: 1-line block ×33, first 2 shown]
	v_cmp_gt_u16_e64 s[0:1], 28, v174
	s_and_saveexec_b64 s[2:3], s[0:1]
	s_cbranch_execz .LBB0_9
; %bb.8:
	ds_read_b128 v[4:7], v172 offset:15232
	ds_read_b128 v[0:3], v172 offset:30912
.LBB0_9:
	s_or_b64 exec, exec, s[2:3]
	v_lshrrev_b16_e32 v169, 2, v188
	v_and_b32_e32 v169, 63, v169
	s_movk_i32 s2, 0xffe4
	v_mul_lo_u16_e32 v181, 37, v169
	v_mov_b32_e32 v185, 28
	s_mov_b32 s3, -1
	v_mul_lo_u16_sdwa v171, v181, v185 dst_sel:DWORD dst_unused:UNUSED_PAD src0_sel:BYTE_1 src1_sel:DWORD
	v_lshl_add_u64 v[190:191], v[174:175], 0, s[2:3]
	v_sub_u16_e32 v171, v188, v171
	v_cndmask_b32_e64 v191, v191, 0, s[0:1]
	v_cndmask_b32_e64 v190, v190, v174, s[0:1]
	v_and_b32_e32 v183, 0xff, v171
	v_lshl_add_u64 v[192:193], v[190:191], 4, s[8:9]
	v_lshlrev_b32_e32 v173, 4, v183
	global_load_dwordx4 v[210:213], v[192:193], off offset:384
	global_load_dwordx4 v[214:217], v173, s[8:9] offset:384
	v_lshrrev_b16_e32 v173, 2, v178
	v_and_b32_e32 v173, 63, v173
	v_lshrrev_b16_e32 v179, 2, v176
	v_mul_lo_u16_e32 v173, 37, v173
	v_and_b32_e32 v179, 63, v179
	v_mul_lo_u16_sdwa v175, v173, v185 dst_sel:DWORD dst_unused:UNUSED_PAD src0_sel:BYTE_1 src1_sel:DWORD
	v_mul_lo_u16_e32 v179, 37, v179
	v_sub_u16_e32 v175, v178, v175
	v_mul_lo_u16_sdwa v185, v179, v185 dst_sel:DWORD dst_unused:UNUSED_PAD src0_sel:BYTE_1 src1_sel:DWORD
	v_and_b32_e32 v175, 0xff, v175
	v_sub_u16_e32 v185, v176, v185
	v_lshlrev_b32_e32 v187, 4, v175
	v_and_b32_e32 v185, 0xff, v185
	v_lshlrev_b32_e32 v188, 4, v185
	global_load_dwordx4 v[218:221], v187, s[8:9] offset:384
	global_load_dwordx4 v[222:225], v188, s[8:9] offset:384
	v_lshrrev_b16_e32 v187, 2, v248
	v_mul_u32_u24_e32 v187, 0x4925, v187
	v_lshrrev_b16_e32 v189, 2, v186
	v_lshrrev_b32_e32 v187, 17, v187
	v_mul_u32_u24_e32 v189, 0x4925, v189
	v_mul_lo_u16_e32 v188, 28, v187
	v_lshrrev_b32_e32 v189, 17, v189
	v_sub_u16_e32 v188, v248, v188
	v_mul_lo_u16_e32 v192, 28, v189
	v_lshlrev_b32_e32 v191, 4, v188
	v_sub_u16_e32 v186, v186, v192
	v_lshlrev_b32_e32 v192, 4, v186
	global_load_dwordx4 v[226:229], v191, s[8:9] offset:384
	global_load_dwordx4 v[230:233], v192, s[8:9] offset:384
	v_lshrrev_b16_e32 v191, 2, v184
	v_mul_u32_u24_e32 v191, 0x4925, v191
	v_lshrrev_b32_e32 v191, 17, v191
	v_mul_lo_u16_e32 v192, 28, v191
	v_sub_u16_e32 v184, v184, v192
	v_lshrrev_b16_e32 v192, 2, v182
	v_mul_u32_u24_e32 v192, 0x4925, v192
	v_lshrrev_b32_e32 v192, 17, v192
	v_mul_lo_u16_e32 v194, 28, v192
	v_lshlrev_b32_e32 v193, 4, v184
	v_sub_u16_e32 v182, v182, v194
	scratch_store_dwordx2 off, v[174:175], off ; 8-byte Folded Spill
	v_lshlrev_b32_e32 v194, 4, v182
	global_load_dwordx4 v[240:243], v193, s[8:9] offset:384
	global_load_dwordx4 v[236:239], v194, s[8:9] offset:384
	scratch_load_dwordx2 v[128:129], off, off ; 8-byte Folded Reload
	v_accvgpr_read_b32 v196, a84
	v_lshrrev_b16_e32 v193, 2, v196
	v_mul_u32_u24_e32 v193, 0x4925, v193
	v_lshrrev_b32_e32 v193, 17, v193
	v_mul_lo_u16_e32 v194, 28, v193
	v_sub_u16_e32 v194, v196, v194
	v_lshlrev_b32_e32 v197, 4, v194
	s_waitcnt vmcnt(9) lgkmcnt(14)
	v_mul_f64 v[206:207], v[94:95], v[212:213]
	v_fma_f64 v[206:207], v[92:93], v[210:211], -v[206:207]
	v_mul_f64 v[208:209], v[92:93], v[212:213]
	v_accvgpr_write_b32 a154, v210
	s_waitcnt vmcnt(8)
	v_mul_f64 v[92:93], v[98:99], v[216:217]
	v_accvgpr_write_b32 a155, v211
	v_accvgpr_write_b32 a156, v212
	;; [unrolled: 1-line block ×3, first 2 shown]
	v_fmac_f64_e32 v[208:209], v[94:95], v[210:211]
	v_fma_f64 v[210:211], v[96:97], v[214:215], -v[92:93]
	v_mul_f64 v[212:213], v[96:97], v[216:217]
	v_accvgpr_write_b32 a150, v214
	v_accvgpr_write_b32 a151, v215
	;; [unrolled: 1-line block ×4, first 2 shown]
	s_waitcnt vmcnt(7)
	v_mul_f64 v[92:93], v[102:103], v[220:221]
	v_fmac_f64_e32 v[212:213], v[98:99], v[214:215]
	v_fma_f64 v[214:215], v[100:101], v[218:219], -v[92:93]
	v_mul_f64 v[216:217], v[100:101], v[220:221]
	v_accvgpr_write_b32 a162, v218
	s_waitcnt vmcnt(6)
	v_mul_f64 v[92:93], v[106:107], v[224:225]
	v_accvgpr_write_b32 a158, v222
	v_accvgpr_write_b32 a163, v219
	;; [unrolled: 1-line block ×4, first 2 shown]
	v_fmac_f64_e32 v[216:217], v[102:103], v[218:219]
	v_fma_f64 v[218:219], v[104:105], v[222:223], -v[92:93]
	v_mul_f64 v[220:221], v[104:105], v[224:225]
	s_waitcnt vmcnt(5)
	v_accvgpr_write_b32 a170, v226
	v_accvgpr_write_b32 a159, v223
	;; [unrolled: 1-line block ×4, first 2 shown]
	v_mul_f64 v[92:93], v[110:111], v[228:229]
	v_mul_f64 v[224:225], v[108:109], v[228:229]
	v_accvgpr_write_b32 a171, v227
	v_accvgpr_write_b32 a172, v228
	;; [unrolled: 1-line block ×3, first 2 shown]
	s_waitcnt vmcnt(4)
	v_mul_f64 v[228:229], v[112:113], v[232:233]
	v_fmac_f64_e32 v[220:221], v[106:107], v[222:223]
	v_fma_f64 v[222:223], v[108:109], v[226:227], -v[92:93]
	v_mul_f64 v[92:93], v[114:115], v[232:233]
	v_fmac_f64_e32 v[228:229], v[114:115], v[230:231]
	v_fmac_f64_e32 v[224:225], v[110:111], v[226:227]
	v_fma_f64 v[226:227], v[112:113], v[230:231], -v[92:93]
	s_waitcnt vmcnt(0)
	v_add_u16_e32 v196, 0x1f8, v128
	v_lshrrev_b16_e32 v195, 2, v196
	v_mul_u32_u24_e32 v195, 0x4925, v195
	v_lshrrev_b32_e32 v195, 17, v195
	v_mul_lo_u16_e32 v198, 28, v195
	v_sub_u16_e32 v196, v196, v198
	v_lshlrev_b32_e32 v198, 4, v196
	global_load_dwordx4 v[250:253], v197, s[8:9] offset:384
	global_load_dwordx4 v[244:247], v198, s[8:9] offset:384
	scratch_load_dwordx2 v[128:129], off, off ; 8-byte Folded Reload
	v_accvgpr_write_b32 a166, v230
	v_mul_f64 v[92:93], v[118:119], v[242:243]
	v_accvgpr_write_b32 a167, v231
	v_accvgpr_write_b32 a168, v232
	;; [unrolled: 1-line block ×3, first 2 shown]
	v_fma_f64 v[230:231], v[116:117], v[240:241], -v[92:93]
	v_mul_f64 v[92:93], v[122:123], v[238:239]
	v_fma_f64 v[234:235], v[120:121], v[236:237], -v[92:93]
	v_mul_f64 v[120:121], v[120:121], v[238:239]
	v_fmac_f64_e32 v[120:121], v[122:123], v[236:237]
	v_mul_f64 v[232:233], v[116:117], v[242:243]
	v_accvgpr_write_b32 a174, v236
	v_accvgpr_write_b32 a175, v237
	;; [unrolled: 1-line block ×8, first 2 shown]
	v_fmac_f64_e32 v[232:233], v[118:119], v[240:241]
	s_waitcnt vmcnt(2)
	v_mul_f64 v[92:93], v[126:127], v[252:253]
	v_fma_f64 v[122:123], v[124:125], v[250:251], -v[92:93]
	s_waitcnt vmcnt(0)
	v_add_u16_e32 v198, 0x230, v128
	scratch_load_dwordx2 v[128:129], off, off ; 8-byte Folded Reload
	v_lshrrev_b16_e32 v197, 2, v198
	v_mul_u32_u24_e32 v197, 0x4925, v197
	v_lshrrev_b32_e32 v197, 17, v197
	v_mul_lo_u16_e32 v199, 28, v197
	v_sub_u16_e32 v198, v198, v199
	v_lshlrev_b32_e32 v201, 4, v198
	v_mul_f64 v[92:93], v[154:155], v[246:247]
	v_fma_f64 v[108:109], v[152:153], v[244:245], -v[92:93]
	v_mul_f64 v[110:111], v[124:125], v[252:253]
	v_accvgpr_write_b32 a186, v250
	v_fmac_f64_e32 v[110:111], v[126:127], v[250:251]
	v_accvgpr_write_b32 a187, v251
	v_accvgpr_write_b32 a188, v252
	v_accvgpr_write_b32 a189, v253
	v_mul_f64 v[106:107], v[152:153], v[246:247]
	v_accvgpr_write_b32 a182, v244
	v_accvgpr_write_b32 a183, v245
	;; [unrolled: 1-line block ×4, first 2 shown]
	v_fmac_f64_e32 v[106:107], v[154:155], v[244:245]
	v_add_f64 v[152:153], v[48:49], -v[230:231]
	v_add_f64 v[154:155], v[50:51], -v[232:233]
	v_fma_f64 v[48:49], v[48:49], 2.0, -v[152:153]
	v_fma_f64 v[50:51], v[50:51], 2.0, -v[154:155]
	v_add_f64 v[108:109], v[36:37], -v[108:109]
	v_fma_f64 v[36:37], v[36:37], 2.0, -v[108:109]
	s_waitcnt vmcnt(0)
	v_add_u16_e32 v200, 0x268, v128
	v_lshrrev_b16_e32 v199, 2, v200
	v_mul_u32_u24_e32 v199, 0x4925, v199
	v_lshrrev_b32_e32 v199, 17, v199
	v_mul_lo_u16_e32 v202, 28, v199
	v_sub_u16_e32 v200, v200, v202
	v_lshlrev_b32_e32 v202, 4, v200
	global_load_dwordx4 v[128:131], v201, s[8:9] offset:384
	global_load_dwordx4 v[168:171], v202, s[8:9] offset:384
	scratch_load_dwordx2 v[132:133], off, off ; 8-byte Folded Reload
	scratch_load_dwordx2 v[114:115], off, off ; 8-byte Folded Reload
	s_waitcnt vmcnt(3) lgkmcnt(12)
	v_mul_f64 v[92:93], v[158:159], v[130:131]
	v_mul_f64 v[102:103], v[156:157], v[130:131]
	s_waitcnt vmcnt(1)
	v_add_u16_e32 v202, 0x2a0, v132
	scratch_load_dwordx2 v[132:133], off, off ; 8-byte Folded Reload
	v_lshrrev_b16_e32 v201, 2, v202
	v_mul_u32_u24_e32 v201, 0x4925, v201
	v_lshrrev_b32_e32 v201, 17, v201
	v_mul_lo_u16_e32 v203, 28, v201
	v_sub_u16_e32 v202, v202, v203
	v_lshlrev_b32_e32 v204, 4, v202
	global_load_dwordx4 v[136:139], v204, s[8:9] offset:384
	v_accvgpr_write_b32 a199, v131
	v_fma_f64 v[104:105], v[156:157], v[128:129], -v[92:93]
	v_accvgpr_write_b32 a198, v130
	v_accvgpr_write_b32 a197, v129
	;; [unrolled: 1-line block ×3, first 2 shown]
	v_fmac_f64_e32 v[102:103], v[158:159], v[128:129]
	s_waitcnt lgkmcnt(10)
	v_mul_f64 v[92:93], v[162:163], v[170:171]
	v_fma_f64 v[100:101], v[160:161], v[168:169], -v[92:93]
	v_mul_f64 v[98:99], v[160:161], v[170:171]
	v_add_f64 v[160:161], v[40:41], -v[122:123]
	v_mov_b32_e32 v122, 56
	v_add_f64 v[156:157], v[44:45], -v[234:235]
	v_add_f64 v[158:159], v[46:47], -v[120:121]
	v_fma_f64 v[44:45], v[44:45], 2.0, -v[156:157]
	v_fma_f64 v[46:47], v[46:47], 2.0, -v[158:159]
	v_fmac_f64_e32 v[98:99], v[162:163], v[168:169]
	v_add_f64 v[162:163], v[42:43], -v[110:111]
	v_fma_f64 v[40:41], v[40:41], 2.0, -v[160:161]
	v_fma_f64 v[42:43], v[42:43], 2.0, -v[162:163]
	v_add_f64 v[110:111], v[38:39], -v[106:107]
	v_fma_f64 v[38:39], v[38:39], 2.0, -v[110:111]
	v_add_f64 v[104:105], v[32:33], -v[104:105]
	v_add_f64 v[106:107], v[34:35], -v[102:103]
	v_fma_f64 v[32:33], v[32:33], 2.0, -v[104:105]
	v_fma_f64 v[34:35], v[34:35], 2.0, -v[106:107]
	v_add_f64 v[100:101], v[28:29], -v[100:101]
	v_add_f64 v[102:103], v[30:31], -v[98:99]
	v_fma_f64 v[28:29], v[28:29], 2.0, -v[100:101]
	v_fma_f64 v[30:31], v[30:31], 2.0, -v[102:103]
	v_accvgpr_write_b32 a193, v171
	v_accvgpr_write_b32 a192, v170
	;; [unrolled: 1-line block ×4, first 2 shown]
	s_waitcnt vmcnt(2)
	v_add_u16_e32 v113, 0x348, v114
	scratch_load_dwordx2 v[128:129], off, off ; 8-byte Folded Reload
	s_waitcnt vmcnt(2)
	v_add_u16_e32 v205, 0x2d8, v132
	v_lshrrev_b16_e32 v203, 2, v205
	v_mul_u32_u24_e32 v203, 0x4925, v203
	v_lshrrev_b32_e32 v203, 17, v203
	v_mul_lo_u16_e32 v204, 28, v203
	v_sub_u16_e32 v204, v205, v204
	v_lshlrev_b32_e32 v205, 4, v204
	global_load_dwordx4 v[132:135], v205, s[8:9] offset:384
	s_waitcnt vmcnt(2) lgkmcnt(8)
	v_mul_f64 v[92:93], v[166:167], v[138:139]
	v_fma_f64 v[94:95], v[164:165], v[136:137], -v[92:93]
	v_mul_f64 v[92:93], v[164:165], v[138:139]
	v_add_f64 v[164:165], v[24:25], -v[94:95]
	v_fmac_f64_e32 v[92:93], v[166:167], v[136:137]
	v_add_f64 v[166:167], v[26:27], -v[92:93]
	v_fma_f64 v[24:25], v[24:25], 2.0, -v[164:165]
	v_fma_f64 v[26:27], v[26:27], 2.0, -v[166:167]
	v_accvgpr_write_b32 a215, v139
	v_accvgpr_write_b32 a214, v138
	v_accvgpr_write_b32 a213, v137
	v_accvgpr_write_b32 a212, v136
	s_waitcnt vmcnt(1)
	v_cmp_lt_u16_e64 s[2:3], 27, v128
	s_waitcnt vmcnt(0) lgkmcnt(6)
	v_mul_f64 v[96:97], v[90:91], v[134:135]
	v_fma_f64 v[96:97], v[88:89], v[132:133], -v[96:97]
	v_mul_f64 v[88:89], v[88:89], v[134:135]
	v_fmac_f64_e32 v[88:89], v[90:91], v[132:133]
	scratch_load_dwordx2 v[90:91], off, off ; 8-byte Folded Reload
	v_add_f64 v[88:89], v[22:23], -v[88:89]
	v_fma_f64 v[22:23], v[22:23], 2.0, -v[88:89]
	v_accvgpr_write_b32 a207, v135
	v_accvgpr_write_b32 a206, v134
	;; [unrolled: 1-line block ×4, first 2 shown]
	s_waitcnt vmcnt(0)
	v_add_u16_e32 v90, 0x310, v90
	v_lshrrev_b16_e32 v91, 2, v90
	v_mul_u32_u24_e32 v91, 0x4925, v91
	v_lshrrev_b32_e32 v91, 17, v91
	v_mul_lo_u16_e32 v112, 28, v91
	v_sub_u16_e32 v205, v90, v112
	v_lshrrev_b16_e32 v90, 2, v113
	v_mul_u32_u24_e32 v90, 0x4925, v90
	v_lshlrev_b32_e32 v112, 4, v205
	v_lshrrev_b32_e32 v90, 17, v90
	global_load_dwordx4 v[124:127], v112, s[8:9] offset:384
	v_mul_lo_u16_e32 v112, 28, v90
	v_sub_u16_e32 v252, v113, v112
	v_lshlrev_b32_e32 v112, 4, v252
	global_load_dwordx4 v[114:117], v112, s[8:9] offset:384
	s_waitcnt vmcnt(1) lgkmcnt(4)
	v_mul_f64 v[112:113], v[86:87], v[126:127]
	v_fma_f64 v[236:237], v[84:85], v[124:125], -v[112:113]
	v_mul_f64 v[84:85], v[84:85], v[126:127]
	v_fmac_f64_e32 v[84:85], v[86:87], v[124:125]
	s_waitcnt vmcnt(0) lgkmcnt(2)
	v_mul_f64 v[86:87], v[82:83], v[116:117]
	v_fma_f64 v[238:239], v[80:81], v[114:115], -v[86:87]
	v_mul_f64 v[240:241], v[80:81], v[116:117]
	scratch_load_dwordx2 v[80:81], off, off ; 8-byte Folded Reload
	v_accvgpr_write_b32 a223, v117
	v_accvgpr_write_b32 a222, v116
	v_accvgpr_write_b32 a221, v115
	v_accvgpr_write_b32 a220, v114
	v_fmac_f64_e32 v[240:241], v[82:83], v[114:115]
	v_add_f64 v[94:95], v[18:19], -v[84:85]
	v_cndmask_b32_e64 v84, 0, 56, s[2:3]
	v_add_lshl_u32 v84, v190, v84, 4
	v_add_f64 v[82:83], v[66:67], -v[216:217]
	v_fma_f64 v[66:67], v[66:67], 2.0, -v[82:83]
	v_accvgpr_write_b32 a227, v127
	v_accvgpr_write_b32 a226, v126
	;; [unrolled: 1-line block ×4, first 2 shown]
	v_add_f64 v[124:125], v[52:53], -v[226:227]
	v_add_f64 v[126:127], v[54:55], -v[228:229]
	v_fma_f64 v[52:53], v[52:53], 2.0, -v[124:125]
	v_fma_f64 v[54:55], v[54:55], 2.0, -v[126:127]
	v_add_f64 v[86:87], v[20:21], -v[96:97]
	v_fma_f64 v[20:21], v[20:21], 2.0, -v[86:87]
	v_add_f64 v[92:93], v[16:17], -v[236:237]
	v_fma_f64 v[16:17], v[16:17], 2.0, -v[92:93]
	v_fma_f64 v[18:19], v[18:19], 2.0, -v[94:95]
	v_add_f64 v[96:97], v[12:13], -v[238:239]
	v_add_f64 v[98:99], v[14:15], -v[240:241]
	v_fma_f64 v[12:13], v[12:13], 2.0, -v[96:97]
	v_fma_f64 v[14:15], v[14:15], 2.0, -v[98:99]
	s_waitcnt vmcnt(0)
	v_or_b32_e32 v80, 0x380, v80
	v_lshrrev_b16_e32 v81, 2, v80
	v_mul_u32_u24_e32 v81, 0x4925, v81
	v_lshrrev_b32_e32 v253, 17, v81
	v_mul_lo_u16_e32 v81, 28, v253
	v_sub_u16_e32 v254, v80, v81
	scratch_load_dwordx2 v[80:81], off, off ; 8-byte Folded Reload
	s_waitcnt vmcnt(0)
	v_add_u16_e32 v80, 0x3b8, v80
	v_lshrrev_b16_e32 v81, 2, v80
	v_mul_u32_u24_e32 v81, 0x4925, v81
	v_lshrrev_b32_e32 v81, 17, v81
	v_mul_lo_u16_e32 v81, 28, v81
	v_sub_u16_e32 v80, v80, v81
	v_lshlrev_b32_e32 v81, 4, v80
	v_lshlrev_b32_e32 v80, 4, v254
	global_load_dwordx4 v[116:119], v80, s[8:9] offset:384
	global_load_dwordx4 v[112:115], v81, s[8:9] offset:384
	s_waitcnt vmcnt(1) lgkmcnt(0)
	v_mul_f64 v[244:245], v[76:77], v[118:119]
	scratch_store_dword off, v81, off offset:44 ; 4-byte Folded Spill
	v_mul_f64 v[80:81], v[78:79], v[118:119]
	v_fma_f64 v[242:243], v[76:77], v[116:117], -v[80:81]
	s_waitcnt vmcnt(1)
	v_mul_f64 v[76:77], v[2:3], v[114:115]
	v_mul_f64 v[250:251], v[0:1], v[114:115]
	v_fma_f64 v[246:247], v[0:1], v[112:113], -v[76:77]
	v_fmac_f64_e32 v[250:251], v[2:3], v[112:113]
	v_add_f64 v[0:1], v[72:73], -v[206:207]
	v_add_f64 v[2:3], v[74:75], -v[208:209]
	v_fma_f64 v[74:75], v[74:75], 2.0, -v[2:3]
	s_waitcnt lgkmcnt(0)
	; wave barrier
	ds_write_b128 v84, v[0:3] offset:448
	v_add_f64 v[2:3], v[6:7], -v[250:251]
	v_fma_f64 v[72:73], v[72:73], 2.0, -v[0:1]
	v_add_f64 v[0:1], v[4:5], -v[246:247]
	v_accvgpr_write_b32 a21, v3
	v_fmac_f64_e32 v[244:245], v[78:79], v[116:117]
	v_add_f64 v[76:77], v[68:69], -v[210:211]
	v_add_f64 v[78:79], v[70:71], -v[212:213]
	v_accvgpr_write_b32 a20, v2
	v_accvgpr_write_b32 a19, v1
	;; [unrolled: 1-line block ×3, first 2 shown]
	v_mul_u32_u24_sdwa v0, v181, v122 dst_sel:DWORD dst_unused:UNUSED_PAD src0_sel:BYTE_1 src1_sel:DWORD
	v_fma_f64 v[68:69], v[68:69], 2.0, -v[76:77]
	v_fma_f64 v[70:71], v[70:71], 2.0, -v[78:79]
	v_add_lshl_u32 v0, v0, v183, 4
	v_add_f64 v[80:81], v[64:65], -v[214:215]
	ds_write_b128 v84, v[72:75]
	ds_write_b128 v0, v[68:71]
	scratch_store_dword off, v0, off offset:64 ; 4-byte Folded Spill
	ds_write_b128 v0, v[76:79] offset:448
	v_mul_u32_u24_sdwa v0, v173, v122 dst_sel:DWORD dst_unused:UNUSED_PAD src0_sel:BYTE_1 src1_sel:DWORD
	v_accvgpr_write_b32 a149, v115
	v_fma_f64 v[64:65], v[64:65], 2.0, -v[80:81]
	v_add_lshl_u32 v0, v0, v175, 4
	v_accvgpr_write_b32 a148, v114
	v_accvgpr_write_b32 a147, v113
	;; [unrolled: 1-line block ×3, first 2 shown]
	v_add_f64 v[112:113], v[60:61], -v[218:219]
	v_add_f64 v[114:115], v[62:63], -v[220:221]
	ds_write_b128 v0, v[64:67]
	scratch_store_dword off, v0, off offset:68 ; 4-byte Folded Spill
	ds_write_b128 v0, v[80:83] offset:448
	v_mul_u32_u24_sdwa v0, v179, v122 dst_sel:DWORD dst_unused:UNUSED_PAD src0_sel:BYTE_1 src1_sel:DWORD
	v_accvgpr_write_b32 a231, v119
	v_fma_f64 v[60:61], v[60:61], 2.0, -v[112:113]
	v_fma_f64 v[62:63], v[62:63], 2.0, -v[114:115]
	v_add_lshl_u32 v0, v0, v185, 4
	v_accvgpr_write_b32 a230, v118
	v_accvgpr_write_b32 a229, v117
	;; [unrolled: 1-line block ×3, first 2 shown]
	v_add_f64 v[116:117], v[56:57], -v[222:223]
	v_add_f64 v[118:119], v[58:59], -v[224:225]
	ds_write_b128 v0, v[60:63]
	scratch_store_dword off, v0, off offset:72 ; 4-byte Folded Spill
	ds_write_b128 v0, v[112:115] offset:448
	v_mad_legacy_u16 v0, v187, 56, v188
	v_fma_f64 v[56:57], v[56:57], 2.0, -v[116:117]
	v_fma_f64 v[58:59], v[58:59], 2.0, -v[118:119]
	v_lshlrev_b32_e32 v0, 4, v0
	ds_write_b128 v0, v[56:59]
	scratch_store_dword off, v0, off offset:76 ; 4-byte Folded Spill
	ds_write_b128 v0, v[116:119] offset:448
	v_mad_legacy_u16 v0, v189, 56, v186
	v_lshlrev_b32_e32 v0, 4, v0
	ds_write_b128 v0, v[52:55]
	scratch_store_dword off, v0, off offset:80 ; 4-byte Folded Spill
	ds_write_b128 v0, v[124:127] offset:448
	v_mad_legacy_u16 v0, v191, 56, v184
	;; [unrolled: 5-line block ×8, first 2 shown]
	v_lshlrev_b32_e32 v0, 4, v0
	ds_write_b128 v0, v[24:27]
	v_accvgpr_write_b32 a5, v0
	ds_write_b128 v0, v[164:167] offset:448
	v_mad_legacy_u16 v0, v203, 56, v204
	v_lshlrev_b32_e32 v0, 4, v0
	ds_write_b128 v0, v[20:23]
	scratch_store_dword off, v0, off offset:172 ; 4-byte Folded Spill
	ds_write_b128 v0, v[86:89] offset:448
	v_mad_legacy_u16 v0, v91, 56, v205
	v_lshlrev_b32_e32 v0, 4, v0
	ds_write_b128 v0, v[16:19]
	v_accvgpr_write_b32 a85, v0
	ds_write_b128 v0, v[92:95] offset:448
	v_mad_legacy_u16 v0, v90, 56, v252
	v_lshlrev_b32_e32 v0, 4, v0
	ds_write_b128 v0, v[12:15]
	v_accvgpr_write_b32 a195, v0
	ds_write_b128 v0, v[96:99] offset:448
	v_mad_legacy_u16 v0, v253, 56, v254
	v_add_f64 v[206:207], v[8:9], -v[242:243]
	v_add_f64 v[208:209], v[10:11], -v[244:245]
	v_lshlrev_b32_e32 v0, 4, v0
	v_fma_f64 v[8:9], v[8:9], 2.0, -v[206:207]
	v_fma_f64 v[10:11], v[10:11], 2.0, -v[208:209]
	v_accvgpr_write_b32 a59, v0
	scratch_store_dword off, v84, off offset:60 ; 4-byte Folded Spill
	ds_write_b128 v0, v[8:11]
	ds_write_b128 v0, v[206:209] offset:448
	s_and_saveexec_b64 s[2:3], s[0:1]
	s_cbranch_execz .LBB0_11
; %bb.10:
	v_accvgpr_read_b32 v8, a18
	v_accvgpr_read_b32 v9, a19
	v_fma_f64 v[0:1], v[4:5], 2.0, -v[8:9]
	scratch_load_dword v4, off, off offset:44 ; 4-byte Folded Reload
	v_accvgpr_read_b32 v10, a20
	v_accvgpr_read_b32 v11, a21
	v_fma_f64 v[2:3], v[6:7], 2.0, -v[10:11]
	s_waitcnt vmcnt(0)
	ds_write_b128 v4, v[0:3] offset:30464
	ds_write_b128 v4, a[18:21] offset:30912
.LBB0_11:
	s_or_b64 exec, exec, s[2:3]
	s_movk_i32 s2, 0x60
	v_mov_b64_e32 v[120:121], s[8:9]
	v_mad_u64_u32 v[0:1], s[12:13], v128, s2, v[120:121]
	s_waitcnt lgkmcnt(0)
	; wave barrier
	s_waitcnt lgkmcnt(0)
	global_load_dwordx4 v[236:239], v[0:1], off offset:832
	global_load_dwordx4 v[232:235], v[0:1], off offset:848
	;; [unrolled: 1-line block ×6, first 2 shown]
	v_lshrrev_b16_e32 v123, 3, v178
	v_and_b32_e32 v123, 31, v123
	v_mul_lo_u16_e32 v123, 37, v123
	v_mul_lo_u16_sdwa v123, v123, v122 dst_sel:DWORD dst_unused:UNUSED_PAD src0_sel:BYTE_1 src1_sel:DWORD
	v_sub_u16_e32 v123, v178, v123
	v_and_b32_e32 v249, 0xff, v123
	v_mad_u64_u32 v[124:125], s[12:13], v249, s2, v[120:121]
	ds_read_b128 v[112:115], v172 offset:4480
	ds_read_b128 v[116:119], v172 offset:8960
	;; [unrolled: 1-line block ×30, first 2 shown]
	v_lshrrev_b16_e32 v126, 3, v176
	global_load_dwordx4 v[228:231], v[124:125], off offset:832
	global_load_dwordx4 v[224:227], v[124:125], off offset:848
	v_and_b32_e32 v123, 31, v126
	v_mul_lo_u16_e32 v123, 37, v123
	global_load_dwordx4 v[192:195], v[124:125], off offset:864
	v_mul_lo_u16_sdwa v123, v123, v122 dst_sel:DWORD dst_unused:UNUSED_PAD src0_sel:BYTE_1 src1_sel:DWORD
	v_sub_u16_e32 v123, v176, v123
	v_and_b32_e32 v173, 0xff, v123
	v_mov_b32_e32 v254, v128
	v_mad_u64_u32 v[120:121], s[2:3], v173, s2, v[120:121]
	global_load_dwordx4 v[196:199], v[124:125], off offset:880
	global_load_dwordx4 v[212:215], v[124:125], off offset:912
	;; [unrolled: 1-line block ×9, first 2 shown]
	v_mov_b32_e32 v179, 0
	s_mov_b32 s28, 0xaaaaaaaa
	s_mov_b32 s29, 0xbff2aaaa
	;; [unrolled: 1-line block ×20, first 2 shown]
	v_lshlrev_b32_e32 v173, 4, v173
	s_waitcnt vmcnt(17) lgkmcnt(14)
	v_mul_f64 v[160:161], v[112:113], v[238:239]
	s_waitcnt vmcnt(16)
	v_mul_f64 v[126:127], v[118:119], v[234:235]
	s_waitcnt vmcnt(15)
	v_mul_f64 v[164:165], v[108:109], v[190:191]
	v_mul_f64 v[152:153], v[110:111], v[190:191]
	v_fmac_f64_e32 v[164:165], v[110:111], v[188:189]
	v_lshrrev_b16_e32 v110, 3, v248
	v_mul_u32_u24_e32 v110, 0x2493, v110
	v_mul_lo_u16_sdwa v110, v110, v122 dst_sel:DWORD dst_unused:UNUSED_PAD src0_sel:WORD_1 src1_sel:DWORD
	v_sub_u16_e32 v248, v248, v110
	v_mul_lo_u16_e32 v178, 0x60, v248
	v_lshl_add_u64 v[110:111], s[8:9], 0, v[178:179]
	s_waitcnt vmcnt(14)
	v_mul_f64 v[166:167], v[104:105], v[186:187]
	s_waitcnt vmcnt(13)
	v_mul_f64 v[156:157], v[102:103], v[246:247]
	global_load_dwordx4 v[250:253], v[110:111], off offset:832
	global_load_dwordx4 v[220:223], v[110:111], off offset:848
	v_mul_f64 v[154:155], v[106:107], v[186:187]
	v_fmac_f64_e32 v[166:167], v[106:107], v[184:185]
	v_fma_f64 v[106:107], v[100:101], v[244:245], -v[156:157]
	v_mul_f64 v[100:101], v[100:101], v[246:247]
	v_fmac_f64_e32 v[100:101], v[102:103], v[244:245]
	s_waitcnt vmcnt(14)
	v_mul_f64 v[102:103], v[98:99], v[242:243]
	v_fma_f64 v[102:103], v[96:97], v[240:241], -v[102:103]
	v_mul_f64 v[96:97], v[96:97], v[242:243]
	v_fmac_f64_e32 v[96:97], v[98:99], v[240:241]
	v_mul_f64 v[98:99], v[90:91], v[238:239]
	global_load_dwordx4 v[216:219], v[110:111], off offset:864
	global_load_dwordx4 v[208:211], v[110:111], off offset:880
	v_mul_f64 v[124:125], v[114:115], v[238:239]
	v_mul_f64 v[162:163], v[116:117], v[234:235]
	v_fmac_f64_e32 v[160:161], v[114:115], v[236:237]
	v_fma_f64 v[114:115], v[116:117], v[232:233], -v[126:127]
	v_fma_f64 v[98:99], v[88:89], v[236:237], -v[98:99]
	v_mul_f64 v[116:117], v[88:89], v[238:239]
	v_mul_f64 v[88:89], v[94:95], v[234:235]
	v_fmac_f64_e32 v[162:163], v[118:119], v[232:233]
	v_fmac_f64_e32 v[116:117], v[90:91], v[236:237]
	v_fma_f64 v[118:119], v[92:93], v[232:233], -v[88:89]
	v_mul_f64 v[120:121], v[92:93], v[234:235]
	v_mul_f64 v[88:89], v[86:87], v[190:191]
	global_load_dwordx4 v[90:93], v[110:111], off offset:896
	v_mul_f64 v[168:169], v[84:85], v[190:191]
	v_fma_f64 v[122:123], v[84:85], v[188:189], -v[88:89]
	v_fmac_f64_e32 v[168:169], v[86:87], v[188:189]
	global_load_dwordx4 v[86:89], v[110:111], off offset:912
	v_mul_f64 v[84:85], v[82:83], v[186:187]
	v_fma_f64 v[110:111], v[80:81], v[184:185], -v[84:85]
	v_mul_f64 v[170:171], v[80:81], v[186:187]
	v_accvgpr_write_b32 a6, v184
	v_mul_f64 v[80:81], v[78:79], v[246:247]
	v_fma_f64 v[104:105], v[104:105], v[184:185], -v[154:155]
	v_accvgpr_write_b32 a94, v188
	v_accvgpr_write_b32 a7, v185
	;; [unrolled: 1-line block ×4, first 2 shown]
	v_fmac_f64_e32 v[170:171], v[82:83], v[184:185]
	v_fma_f64 v[184:185], v[76:77], v[244:245], -v[80:81]
	v_mul_f64 v[186:187], v[76:77], v[246:247]
	v_mul_f64 v[76:77], v[74:75], v[242:243]
	v_fma_f64 v[108:109], v[108:109], v[188:189], -v[152:153]
	v_accvgpr_write_b32 a95, v189
	v_accvgpr_write_b32 a96, v190
	;; [unrolled: 1-line block ×3, first 2 shown]
	v_fma_f64 v[188:189], v[72:73], v[240:241], -v[76:77]
	v_mul_f64 v[190:191], v[72:73], v[242:243]
	s_waitcnt vmcnt(17)
	v_mul_f64 v[72:73], v[70:71], v[230:231]
	v_fma_f64 v[112:113], v[112:113], v[236:237], -v[124:125]
	v_fma_f64 v[124:125], v[68:69], v[228:229], -v[72:73]
	v_mul_f64 v[126:127], v[68:69], v[230:231]
	s_waitcnt vmcnt(16)
	v_mul_f64 v[68:69], v[66:67], v[226:227]
	v_fma_f64 v[152:153], v[64:65], v[224:225], -v[68:69]
	v_mul_f64 v[154:155], v[64:65], v[226:227]
	s_waitcnt vmcnt(15)
	v_mul_f64 v[64:65], v[62:63], v[194:195]
	v_fma_f64 v[156:157], v[60:61], v[192:193], -v[64:65]
	v_mul_f64 v[158:159], v[60:61], v[194:195]
	v_accvgpr_write_b32 a80, v192
	s_waitcnt vmcnt(14)
	v_mul_f64 v[60:61], v[58:59], v[198:199]
	v_accvgpr_write_b32 a81, v193
	v_accvgpr_write_b32 a82, v194
	;; [unrolled: 1-line block ×3, first 2 shown]
	v_fmac_f64_e32 v[158:159], v[62:63], v[192:193]
	v_fma_f64 v[192:193], v[56:57], v[196:197], -v[60:61]
	v_mul_f64 v[194:195], v[56:57], v[198:199]
	v_accvgpr_write_b32 a76, v196
	s_waitcnt vmcnt(12) lgkmcnt(13)
	v_mul_f64 v[56:57], v[54:55], v[202:203]
	v_accvgpr_write_b32 a77, v197
	v_accvgpr_write_b32 a78, v198
	;; [unrolled: 1-line block ×3, first 2 shown]
	v_fmac_f64_e32 v[194:195], v[58:59], v[196:197]
	v_fma_f64 v[196:197], v[52:53], v[200:201], -v[56:57]
	v_mul_f64 v[198:199], v[52:53], v[202:203]
	v_accvgpr_write_b32 a64, v200
	s_waitcnt lgkmcnt(12)
	v_mul_f64 v[52:53], v[50:51], v[214:215]
	v_accvgpr_write_b32 a65, v201
	v_accvgpr_write_b32 a66, v202
	;; [unrolled: 1-line block ×3, first 2 shown]
	v_fmac_f64_e32 v[198:199], v[54:55], v[200:201]
	v_fma_f64 v[200:201], v[48:49], v[212:213], -v[52:53]
	v_mul_f64 v[202:203], v[48:49], v[214:215]
	s_waitcnt vmcnt(9) lgkmcnt(11)
	v_mul_f64 v[48:49], v[42:43], v[206:207]
	v_fma_f64 v[48:49], v[40:41], v[204:205], -v[48:49]
	v_mul_f64 v[40:41], v[40:41], v[206:207]
	v_fmac_f64_e32 v[40:41], v[42:43], v[204:205]
	s_waitcnt lgkmcnt(10)
	v_mul_f64 v[42:43], v[46:47], v[134:135]
	v_fma_f64 v[42:43], v[44:45], v[132:133], -v[42:43]
	v_mul_f64 v[44:45], v[44:45], v[134:135]
	v_fmac_f64_e32 v[44:45], v[46:47], v[132:133]
	s_waitcnt lgkmcnt(9)
	v_mul_f64 v[46:47], v[38:39], v[130:131]
	v_fmac_f64_e32 v[202:203], v[50:51], v[212:213]
	v_fma_f64 v[46:47], v[36:37], v[128:129], -v[46:47]
	v_mul_f64 v[50:51], v[36:37], v[130:131]
	s_waitcnt vmcnt(8) lgkmcnt(8)
	v_mul_f64 v[36:37], v[34:35], v[182:183]
	v_fma_f64 v[52:53], v[32:33], v[180:181], -v[36:37]
	v_mul_f64 v[54:55], v[32:33], v[182:183]
	s_waitcnt vmcnt(6) lgkmcnt(7)
	v_mul_f64 v[32:33], v[30:31], v[176:177]
	v_fma_f64 v[56:57], v[28:29], v[174:175], -v[32:33]
	v_mul_f64 v[58:59], v[28:29], v[176:177]
	s_waitcnt lgkmcnt(6)
	v_mul_f64 v[28:29], v[26:27], v[138:139]
	v_fma_f64 v[60:61], v[24:25], v[136:137], -v[28:29]
	v_mul_f64 v[62:63], v[24:25], v[138:139]
	s_waitcnt vmcnt(5) lgkmcnt(5)
	v_mul_f64 v[24:25], v[22:23], v[252:253]
	v_fma_f64 v[24:25], v[20:21], v[250:251], -v[24:25]
	v_mul_f64 v[20:21], v[20:21], v[252:253]
	v_fmac_f64_e32 v[20:21], v[22:23], v[250:251]
	s_waitcnt vmcnt(4) lgkmcnt(4)
	v_mul_f64 v[22:23], v[18:19], v[222:223]
	v_fma_f64 v[22:23], v[16:17], v[220:221], -v[22:23]
	v_mul_f64 v[16:17], v[16:17], v[222:223]
	v_fmac_f64_e32 v[16:17], v[18:19], v[220:221]
	s_waitcnt vmcnt(3) lgkmcnt(3)
	v_mul_f64 v[18:19], v[14:15], v[218:219]
	v_fmac_f64_e32 v[62:63], v[26:27], v[136:137]
	v_fma_f64 v[18:19], v[12:13], v[216:217], -v[18:19]
	v_mul_f64 v[26:27], v[12:13], v[218:219]
	s_waitcnt vmcnt(2) lgkmcnt(2)
	v_mul_f64 v[12:13], v[10:11], v[210:211]
	v_fmac_f64_e32 v[58:59], v[30:31], v[174:175]
	v_fma_f64 v[28:29], v[8:9], v[208:209], -v[12:13]
	v_mul_f64 v[30:31], v[8:9], v[210:211]
	;; [unrolled: 5-line block ×3, first 2 shown]
	s_waitcnt vmcnt(0) lgkmcnt(0)
	v_mul_f64 v[4:5], v[2:3], v[88:89]
	v_fma_f64 v[36:37], v[0:1], v[86:87], -v[4:5]
	v_add_f64 v[4:5], v[112:113], v[102:103]
	v_add_f64 v[8:9], v[114:115], v[106:107]
	v_fmac_f64_e32 v[50:51], v[38:39], v[128:129]
	v_fmac_f64_e32 v[26:27], v[14:15], v[216:217]
	;; [unrolled: 1-line block ×4, first 2 shown]
	v_mul_f64 v[38:39], v[0:1], v[88:89]
	v_add_f64 v[6:7], v[160:161], v[96:97]
	v_add_f64 v[10:11], v[108:109], v[104:105]
	;; [unrolled: 1-line block ×7, first 2 shown]
	v_fmac_f64_e32 v[126:127], v[70:71], v[228:229]
	v_fmac_f64_e32 v[38:39], v[2:3], v[86:87]
	v_add_f64 v[70:71], v[68:69], v[0:1]
	ds_read_b128 v[0:3], v172
	v_add_f64 v[72:73], v[114:115], -v[106:107]
	v_add_f64 v[76:77], v[104:105], -v[108:109]
	v_fmac_f64_e32 v[186:187], v[78:79], v[244:245]
	v_fmac_f64_e32 v[190:191], v[74:75], v[240:241]
	s_waitcnt lgkmcnt(0)
	v_add_f64 v[64:65], v[0:1], v[12:13]
	v_add_f64 v[0:1], v[112:113], -v[102:103]
	v_add_f64 v[74:75], v[162:163], -v[100:101]
	;; [unrolled: 1-line block ×9, first 2 shown]
	v_add_f64 v[68:69], v[76:77], v[72:73]
	v_fmac_f64_e32 v[154:155], v[66:67], v[224:225]
	v_add_f64 v[66:67], v[2:3], v[70:71]
	v_add_f64 v[2:3], v[160:161], -v[96:97]
	v_add_f64 v[82:83], v[76:77], -v[72:73]
	;; [unrolled: 1-line block ×4, first 2 shown]
	v_add_f64 v[0:1], v[68:69], v[0:1]
	v_add_f64 v[68:69], v[78:79], v[74:75]
	v_add_f64 v[84:85], v[78:79], -v[74:75]
	v_add_f64 v[78:79], v[2:3], -v[78:79]
	v_add_f64 v[74:75], v[74:75], -v[2:3]
	v_add_f64 v[2:3], v[68:69], v[2:3]
	v_mov_b64_e32 v[68:69], v[64:65]
	v_fmac_f64_e32 v[68:69], s[28:29], v[12:13]
	v_mov_b64_e32 v[12:13], v[66:67]
	v_fmac_f64_e32 v[12:13], s[28:29], v[70:71]
	v_mul_f64 v[4:5], v[4:5], s[18:19]
	v_mul_f64 v[70:71], v[8:9], s[2:3]
	v_fma_f64 v[70:71], v[80:81], s[26:27], -v[70:71]
	v_fma_f64 v[80:81], v[80:81], s[20:21], -v[4:5]
	v_fmac_f64_e32 v[4:5], s[2:3], v[8:9]
	v_mul_f64 v[6:7], v[6:7], s[18:19]
	v_mul_f64 v[8:9], v[14:15], s[2:3]
	v_accvgpr_write_b32 a137, v89
	v_fma_f64 v[8:9], v[10:11], s[26:27], -v[8:9]
	v_fma_f64 v[10:11], v[10:11], s[20:21], -v[6:7]
	v_fmac_f64_e32 v[6:7], s[2:3], v[14:15]
	v_mul_f64 v[14:15], v[82:83], s[30:31]
	v_mul_f64 v[82:83], v[72:73], s[22:23]
	v_accvgpr_write_b32 a145, v93
	v_accvgpr_write_b32 a136, v88
	;; [unrolled: 1-line block ×4, first 2 shown]
	v_fma_f64 v[72:73], v[72:73], s[22:23], -v[14:15]
	v_fmac_f64_e32 v[14:15], s[12:13], v[76:77]
	v_fma_f64 v[86:87], v[76:77], s[24:25], -v[82:83]
	v_mul_f64 v[84:85], v[84:85], s[30:31]
	v_mul_f64 v[76:77], v[74:75], s[22:23]
	v_accvgpr_write_b32 a144, v92
	v_accvgpr_write_b32 a143, v91
	;; [unrolled: 1-line block ×3, first 2 shown]
	v_fma_f64 v[74:75], v[74:75], s[22:23], -v[84:85]
	v_fmac_f64_e32 v[84:85], s[12:13], v[78:79]
	v_fma_f64 v[92:93], v[78:79], s[24:25], -v[76:77]
	v_add_f64 v[4:5], v[4:5], v[68:69]
	v_add_f64 v[70:71], v[70:71], v[68:69]
	;; [unrolled: 1-line block ×5, first 2 shown]
	v_fmac_f64_e32 v[14:15], s[14:15], v[0:1]
	v_fmac_f64_e32 v[84:85], s[14:15], v[2:3]
	;; [unrolled: 1-line block ×6, first 2 shown]
	v_add_f64 v[80:81], v[70:71], -v[74:75]
	v_add_f64 v[82:83], v[72:73], v[8:9]
	v_add_f64 v[76:77], v[74:75], v[70:71]
	v_add_f64 v[78:79], v[8:9], -v[72:73]
	v_add_f64 v[88:89], v[92:93], v[68:69]
	v_add_f64 v[72:73], v[68:69], -v[92:93]
	;; [unrolled: 2-line block ×3, first 2 shown]
	v_add_f64 v[68:69], v[4:5], -v[84:85]
	v_add_f64 v[70:71], v[14:15], v[6:7]
	v_add_f64 v[4:5], v[98:99], v[188:189]
	;; [unrolled: 1-line block ×4, first 2 shown]
	v_fmac_f64_e32 v[86:87], s[14:15], v[0:1]
	v_add_f64 v[8:9], v[122:123], v[110:111]
	v_add_f64 v[0:1], v[6:7], v[4:5]
	;; [unrolled: 1-line block ×4, first 2 shown]
	v_add_f64 v[90:91], v[10:11], -v[86:87]
	v_add_f64 v[74:75], v[86:87], v[10:11]
	v_add_f64 v[10:11], v[8:9], v[0:1]
	;; [unrolled: 1-line block ×5, first 2 shown]
	ds_read_b128 v[0:3], v172 offset:896
	v_add_f64 v[106:107], v[110:111], -v[122:123]
	v_add_f64 v[100:101], v[120:121], -v[186:187]
	;; [unrolled: 1-line block ×4, first 2 shown]
	s_waitcnt lgkmcnt(0)
	v_add_f64 v[84:85], v[0:1], v[10:11]
	v_add_f64 v[86:87], v[2:3], v[96:97]
	v_mov_b64_e32 v[110:111], v[84:85]
	v_add_f64 v[0:1], v[98:99], -v[188:189]
	v_add_f64 v[2:3], v[116:117], -v[190:191]
	;; [unrolled: 1-line block ×3, first 2 shown]
	v_fmac_f64_e32 v[110:111], s[28:29], v[10:11]
	v_mov_b64_e32 v[10:11], v[86:87]
	v_fmac_f64_e32 v[10:11], s[28:29], v[96:97]
	v_add_f64 v[6:7], v[8:9], -v[6:7]
	v_add_f64 v[96:97], v[106:107], v[98:99]
	v_add_f64 v[102:103], v[106:107], -v[98:99]
	v_add_f64 v[116:117], v[98:99], -v[0:1]
	v_add_f64 v[98:99], v[108:109], v[100:101]
	v_add_f64 v[118:119], v[108:109], -v[100:101]
	v_add_f64 v[120:121], v[100:101], -v[2:3]
	;; [unrolled: 1-line block ×6, first 2 shown]
	v_add_f64 v[122:123], v[96:97], v[0:1]
	v_add_f64 v[160:161], v[98:99], v[2:3]
	v_mul_f64 v[118:119], v[118:119], s[30:31]
	v_add_f64 v[0:1], v[0:1], -v[106:107]
	v_add_f64 v[2:3], v[2:3], -v[108:109]
	v_mul_f64 v[4:5], v[4:5], s[18:19]
	v_mul_f64 v[8:9], v[8:9], s[18:19]
	;; [unrolled: 1-line block ×5, first 2 shown]
	v_fma_f64 v[166:167], v[120:121], s[22:23], -v[118:119]
	v_fma_f64 v[106:107], v[112:113], s[20:21], -v[4:5]
	;; [unrolled: 1-line block ×5, first 2 shown]
	v_fmac_f64_e32 v[4:5], s[2:3], v[6:7]
	v_fmac_f64_e32 v[118:119], s[12:13], v[2:3]
	v_mul_f64 v[96:97], v[6:7], s[2:3]
	v_mul_f64 v[98:99], v[14:15], s[2:3]
	v_fma_f64 v[164:165], v[116:117], s[22:23], -v[162:163]
	v_add_f64 v[106:107], v[106:107], v[110:111]
	v_add_f64 v[108:109], v[108:109], v[10:11]
	v_fmac_f64_e32 v[12:13], s[14:15], v[122:123]
	v_fmac_f64_e32 v[104:105], s[14:15], v[160:161]
	;; [unrolled: 1-line block ×4, first 2 shown]
	v_add_f64 v[0:1], v[4:5], v[110:111]
	v_fmac_f64_e32 v[118:119], s[14:15], v[160:161]
	v_add_f64 v[4:5], v[124:125], v[200:201]
	v_add_f64 v[6:7], v[152:153], v[196:197]
	v_fma_f64 v[96:97], v[112:113], s[26:27], -v[96:97]
	v_fma_f64 v[98:99], v[114:115], s[26:27], -v[98:99]
	v_add_f64 v[112:113], v[104:105], v[106:107]
	v_add_f64 v[114:115], v[108:109], -v[12:13]
	v_add_f64 v[104:105], v[106:107], -v[104:105]
	v_add_f64 v[106:107], v[12:13], v[108:109]
	v_add_f64 v[2:3], v[8:9], v[10:11]
	;; [unrolled: 1-line block ×3, first 2 shown]
	v_add_f64 v[108:109], v[0:1], -v[118:119]
	v_add_f64 v[8:9], v[156:157], v[192:193]
	v_add_f64 v[0:1], v[6:7], v[4:5]
	;; [unrolled: 1-line block ×5, first 2 shown]
	v_fmac_f64_e32 v[166:167], s[14:15], v[160:161]
	v_fmac_f64_e32 v[162:163], s[14:15], v[122:123]
	v_add_f64 v[10:11], v[8:9], v[0:1]
	v_add_f64 v[160:161], v[158:159], v[194:195]
	;; [unrolled: 1-line block ×4, first 2 shown]
	v_fmac_f64_e32 v[164:165], s[14:15], v[122:123]
	v_add_f64 v[122:123], v[2:3], -v[162:163]
	v_add_f64 v[110:111], v[162:163], v[2:3]
	v_add_f64 v[162:163], v[160:161], v[0:1]
	ds_read_b128 v[0:3], v172 offset:1792
	v_add_f64 v[156:157], v[192:193], -v[156:157]
	v_add_f64 v[158:159], v[194:195], -v[158:159]
	;; [unrolled: 1-line block ×3, first 2 shown]
	v_add_f64 v[96:97], v[166:167], v[96:97]
	s_waitcnt lgkmcnt(0)
	v_add_f64 v[116:117], v[0:1], v[10:11]
	v_add_f64 v[118:119], v[2:3], v[162:163]
	v_mov_b64_e32 v[168:169], v[116:117]
	v_add_f64 v[0:1], v[124:125], -v[200:201]
	v_add_f64 v[2:3], v[126:127], -v[202:203]
	;; [unrolled: 1-line block ×4, first 2 shown]
	v_fmac_f64_e32 v[168:169], s[28:29], v[10:11]
	v_mov_b64_e32 v[10:11], v[118:119]
	v_fmac_f64_e32 v[10:11], s[28:29], v[162:163]
	v_add_f64 v[162:163], v[6:7], -v[4:5]
	v_add_f64 v[6:7], v[8:9], -v[6:7]
	v_add_f64 v[152:153], v[156:157], v[124:125]
	v_add_f64 v[154:155], v[156:157], -v[124:125]
	v_add_f64 v[166:167], v[124:125], -v[0:1]
	v_add_f64 v[124:125], v[158:159], v[126:127]
	v_add_f64 v[170:171], v[158:159], -v[126:127]
	v_add_f64 v[184:185], v[126:127], -v[2:3]
	;; [unrolled: 1-line block ×4, first 2 shown]
	v_add_f64 v[102:103], v[164:165], v[98:99]
	v_add_f64 v[98:99], v[98:99], -v[164:165]
	v_add_f64 v[164:165], v[14:15], -v[12:13]
	v_add_f64 v[14:15], v[160:161], -v[14:15]
	v_add_f64 v[186:187], v[152:153], v[0:1]
	v_add_f64 v[188:189], v[124:125], v[2:3]
	v_mul_f64 v[170:171], v[170:171], s[30:31]
	v_add_f64 v[0:1], v[0:1], -v[156:157]
	v_add_f64 v[2:3], v[2:3], -v[158:159]
	v_mul_f64 v[4:5], v[4:5], s[18:19]
	v_mul_f64 v[8:9], v[8:9], s[18:19]
	;; [unrolled: 1-line block ×5, first 2 shown]
	v_fma_f64 v[194:195], v[184:185], s[22:23], -v[170:171]
	v_fma_f64 v[158:159], v[162:163], s[20:21], -v[4:5]
	;; [unrolled: 1-line block ×5, first 2 shown]
	v_fmac_f64_e32 v[4:5], s[2:3], v[6:7]
	v_fmac_f64_e32 v[8:9], s[2:3], v[14:15]
	;; [unrolled: 1-line block ×3, first 2 shown]
	v_mul_f64 v[126:127], v[14:15], s[2:3]
	v_fma_f64 v[192:193], v[166:167], s[22:23], -v[190:191]
	v_add_f64 v[158:159], v[158:159], v[168:169]
	v_add_f64 v[160:161], v[160:161], v[10:11]
	v_fmac_f64_e32 v[12:13], s[14:15], v[186:187]
	v_fmac_f64_e32 v[156:157], s[14:15], v[188:189]
	;; [unrolled: 1-line block ×3, first 2 shown]
	v_add_f64 v[0:1], v[4:5], v[168:169]
	v_add_f64 v[2:3], v[8:9], v[10:11]
	v_fmac_f64_e32 v[170:171], s[14:15], v[188:189]
	v_add_f64 v[184:185], v[48:49], v[60:61]
	v_add_f64 v[8:9], v[42:43], v[56:57]
	v_mul_f64 v[124:125], v[6:7], s[2:3]
	v_fma_f64 v[126:127], v[164:165], s[26:27], -v[126:127]
	v_fmac_f64_e32 v[192:193], s[14:15], v[186:187]
	v_fmac_f64_e32 v[194:195], s[14:15], v[188:189]
	v_add_f64 v[164:165], v[156:157], v[158:159]
	v_add_f64 v[166:167], v[160:161], -v[12:13]
	v_add_f64 v[156:157], v[158:159], -v[156:157]
	v_add_f64 v[158:159], v[12:13], v[160:161]
	v_fmac_f64_e32 v[190:191], s[14:15], v[186:187]
	v_add_f64 v[4:5], v[170:171], v[0:1]
	v_add_f64 v[160:161], v[0:1], -v[170:171]
	v_add_f64 v[186:187], v[46:47], v[52:53]
	v_add_f64 v[0:1], v[8:9], v[184:185]
	;; [unrolled: 1-line block ×4, first 2 shown]
	v_fma_f64 v[124:125], v[162:163], s[26:27], -v[124:125]
	v_add_f64 v[126:127], v[126:127], v[10:11]
	v_add_f64 v[6:7], v[2:3], -v[190:191]
	v_add_f64 v[162:163], v[190:191], v[2:3]
	v_add_f64 v[10:11], v[186:187], v[0:1]
	;; [unrolled: 1-line block ×5, first 2 shown]
	ds_read_b128 v[0:3], v172 offset:2688
	v_add_f64 v[124:125], v[124:125], v[168:169]
	v_add_f64 v[154:155], v[192:193], v[126:127]
	v_add_f64 v[126:127], v[126:127], -v[192:193]
	v_add_f64 v[152:153], v[124:125], -v[194:195]
	s_waitcnt lgkmcnt(0)
	v_add_f64 v[168:169], v[0:1], v[10:11]
	v_add_f64 v[170:171], v[2:3], v[14:15]
	v_add_f64 v[0:1], v[48:49], -v[60:61]
	v_add_f64 v[2:3], v[40:41], -v[62:63]
	v_add_f64 v[40:41], v[42:43], -v[56:57]
	v_add_f64 v[42:43], v[44:45], -v[58:59]
	v_add_f64 v[44:45], v[52:53], -v[46:47]
	v_mov_b64_e32 v[48:49], v[168:169]
	v_add_f64 v[46:47], v[54:55], -v[50:51]
	v_fmac_f64_e32 v[48:49], s[28:29], v[10:11]
	v_mov_b64_e32 v[50:51], v[170:171]
	v_add_f64 v[10:11], v[44:45], -v[40:41]
	v_fmac_f64_e32 v[50:51], s[28:29], v[14:15]
	v_add_f64 v[52:53], v[8:9], -v[184:185]
	v_add_f64 v[54:55], v[186:187], -v[8:9]
	;; [unrolled: 1-line block ×4, first 2 shown]
	v_add_f64 v[8:9], v[44:45], v[40:41]
	v_add_f64 v[40:41], v[40:41], -v[0:1]
	v_add_f64 v[12:13], v[46:47], v[42:43]
	v_add_f64 v[14:15], v[46:47], -v[42:43]
	v_mul_f64 v[200:201], v[10:11], s[30:31]
	v_add_f64 v[184:185], v[184:185], -v[186:187]
	v_add_f64 v[186:187], v[188:189], -v[190:191]
	;; [unrolled: 1-line block ×3, first 2 shown]
	v_add_f64 v[60:61], v[8:9], v[0:1]
	v_add_f64 v[62:63], v[12:13], v[2:3]
	v_mul_f64 v[202:203], v[14:15], s[30:31]
	v_mul_f64 v[8:9], v[54:55], s[2:3]
	v_mul_f64 v[10:11], v[58:59], s[2:3]
	v_fma_f64 v[192:193], v[40:41], s[22:23], -v[200:201]
	v_add_f64 v[0:1], v[0:1], -v[44:45]
	v_add_f64 v[2:3], v[2:3], -v[46:47]
	v_mul_f64 v[46:47], v[186:187], s[18:19]
	v_mul_f64 v[40:41], v[40:41], s[22:23]
	v_add_f64 v[124:125], v[194:195], v[124:125]
	v_fma_f64 v[8:9], v[52:53], s[26:27], -v[8:9]
	v_fma_f64 v[10:11], v[56:57], s[26:27], -v[10:11]
	;; [unrolled: 1-line block ×3, first 2 shown]
	v_mul_f64 v[44:45], v[184:185], s[18:19]
	v_mul_f64 v[42:43], v[42:43], s[22:23]
	v_fma_f64 v[56:57], v[56:57], s[20:21], -v[46:47]
	v_fma_f64 v[40:41], v[0:1], s[24:25], -v[40:41]
	v_add_f64 v[8:9], v[8:9], v[48:49]
	v_fmac_f64_e32 v[194:195], s[14:15], v[62:63]
	v_fma_f64 v[52:53], v[52:53], s[20:21], -v[44:45]
	v_fma_f64 v[42:43], v[2:3], s[24:25], -v[42:43]
	v_add_f64 v[56:57], v[56:57], v[50:51]
	v_fmac_f64_e32 v[40:41], s[14:15], v[60:61]
	v_fmac_f64_e32 v[44:45], s[2:3], v[54:55]
	;; [unrolled: 1-line block ×3, first 2 shown]
	v_add_f64 v[10:11], v[10:11], v[50:51]
	v_fmac_f64_e32 v[192:193], s[14:15], v[60:61]
	v_add_f64 v[12:13], v[8:9], -v[194:195]
	v_add_f64 v[8:9], v[194:195], v[8:9]
	v_add_f64 v[52:53], v[52:53], v[48:49]
	v_fmac_f64_e32 v[42:43], s[14:15], v[62:63]
	v_add_f64 v[194:195], v[56:57], -v[40:41]
	v_add_f64 v[186:187], v[40:41], v[56:57]
	v_fmac_f64_e32 v[46:47], s[2:3], v[58:59]
	v_fmac_f64_e32 v[200:201], s[12:13], v[0:1]
	v_add_f64 v[0:1], v[44:45], v[48:49]
	v_fmac_f64_e32 v[202:203], s[14:15], v[62:63]
	v_add_f64 v[40:41], v[24:25], v[36:37]
	v_add_f64 v[48:49], v[22:23], v[32:33]
	;; [unrolled: 1-line block ×3, first 2 shown]
	v_add_f64 v[10:11], v[10:11], -v[192:193]
	v_add_f64 v[192:193], v[42:43], v[52:53]
	v_add_f64 v[184:185], v[52:53], -v[42:43]
	v_add_f64 v[2:3], v[46:47], v[50:51]
	v_add_f64 v[196:197], v[202:203], v[0:1]
	v_add_f64 v[188:189], v[0:1], -v[202:203]
	v_add_f64 v[42:43], v[18:19], v[28:29]
	v_add_f64 v[0:1], v[48:49], v[40:41]
	v_add_f64 v[44:45], v[20:21], v[38:39]
	v_add_f64 v[50:51], v[16:17], v[34:35]
	v_fmac_f64_e32 v[200:201], s[14:15], v[60:61]
	v_add_f64 v[52:53], v[42:43], v[0:1]
	v_add_f64 v[46:47], v[26:27], v[30:31]
	;; [unrolled: 1-line block ×3, first 2 shown]
	v_add_f64 v[198:199], v[2:3], -v[200:201]
	v_add_f64 v[190:191], v[200:201], v[2:3]
	v_add_f64 v[54:55], v[46:47], v[0:1]
	ds_read_b128 v[0:3], v172 offset:3584
	v_add_f64 v[24:25], v[24:25], -v[36:37]
	v_add_f64 v[36:37], v[20:21], -v[38:39]
	;; [unrolled: 1-line block ×4, first 2 shown]
	s_waitcnt lgkmcnt(0)
	v_add_f64 v[0:1], v[0:1], v[52:53]
	v_add_f64 v[2:3], v[2:3], v[54:55]
	v_add_f64 v[28:29], v[28:29], -v[18:19]
	v_add_f64 v[26:27], v[30:31], -v[26:27]
	v_mov_b64_e32 v[32:33], v[0:1]
	v_mov_b64_e32 v[34:35], v[2:3]
	v_fmac_f64_e32 v[32:33], s[28:29], v[52:53]
	v_fmac_f64_e32 v[34:35], s[28:29], v[54:55]
	v_add_f64 v[30:31], v[48:49], -v[40:41]
	v_add_f64 v[38:39], v[42:43], -v[48:49]
	;; [unrolled: 1-line block ×4, first 2 shown]
	v_add_f64 v[18:19], v[28:29], v[20:21]
	v_add_f64 v[22:23], v[28:29], -v[20:21]
	v_add_f64 v[52:53], v[20:21], -v[24:25]
	v_add_f64 v[20:21], v[26:27], v[16:17]
	v_add_f64 v[54:55], v[26:27], -v[16:17]
	v_add_f64 v[56:57], v[16:17], -v[36:37]
	;; [unrolled: 1-line block ×4, first 2 shown]
	v_add_f64 v[58:59], v[18:19], v[24:25]
	v_add_f64 v[60:61], v[20:21], v[36:37]
	v_mul_f64 v[62:63], v[22:23], s[30:31]
	v_mul_f64 v[54:55], v[54:55], s[30:31]
	v_mul_f64 v[16:17], v[38:39], s[2:3]
	v_mul_f64 v[18:19], v[50:51], s[2:3]
	v_add_f64 v[44:45], v[24:25], -v[28:29]
	v_add_f64 v[36:37], v[36:37], -v[26:27]
	v_mul_f64 v[40:41], v[40:41], s[18:19]
	v_mul_f64 v[42:43], v[42:43], s[18:19]
	;; [unrolled: 1-line block ×4, first 2 shown]
	v_accvgpr_write_b32 a30, v174
	v_fma_f64 v[16:17], v[30:31], s[26:27], -v[16:17]
	v_fma_f64 v[18:19], v[48:49], s[26:27], -v[18:19]
	;; [unrolled: 1-line block ×8, first 2 shown]
	v_fma_f64 v[38:39], s[2:3], v[38:39], v[40:41]
	v_fmac_f64_e32 v[42:43], s[2:3], v[50:51]
	v_fma_f64 v[40:41], s[12:13], v[44:45], v[62:63]
	v_fmac_f64_e32 v[54:55], s[12:13], v[36:37]
	v_accvgpr_write_b32 a31, v175
	v_accvgpr_write_b32 a32, v176
	;; [unrolled: 1-line block ×3, first 2 shown]
	v_add_f64 v[20:21], v[16:17], v[32:33]
	v_add_f64 v[22:23], v[18:19], v[34:35]
	v_fmac_f64_e32 v[200:201], s[14:15], v[58:59]
	v_fmac_f64_e32 v[202:203], s[14:15], v[60:61]
	v_add_f64 v[28:29], v[28:29], v[32:33]
	v_add_f64 v[30:31], v[30:31], v[34:35]
	v_fmac_f64_e32 v[46:47], s[14:15], v[58:59]
	v_fmac_f64_e32 v[48:49], s[14:15], v[60:61]
	;; [unrolled: 4-line block ×3, first 2 shown]
	v_lshlrev_b32_e32 v175, 4, v249
	v_lshlrev_b32_e32 v174, 4, v248
	;; [unrolled: 1-line block ×3, first 2 shown]
	v_add_f64 v[16:17], v[20:21], -v[202:203]
	v_add_f64 v[18:19], v[200:201], v[22:23]
	v_add_f64 v[20:21], v[202:203], v[20:21]
	v_add_f64 v[22:23], v[22:23], -v[200:201]
	v_add_f64 v[24:25], v[48:49], v[28:29]
	v_add_f64 v[26:27], v[30:31], -v[46:47]
	v_add_f64 v[28:29], v[28:29], -v[48:49]
	v_add_f64 v[30:31], v[46:47], v[30:31]
	v_add_f64 v[32:33], v[54:55], v[36:37]
	v_add_f64 v[34:35], v[38:39], -v[40:41]
	v_add_f64 v[36:37], v[36:37], -v[54:55]
	v_add_f64 v[38:39], v[40:41], v[38:39]
	s_waitcnt lgkmcnt(0)
	; wave barrier
	ds_write_b128 v172, v[64:67]
	ds_write_b128 v172, v[92:95] offset:896
	ds_write_b128 v172, v[88:91] offset:1792
	ds_write_b128 v172, v[80:83] offset:2688
	ds_write_b128 v172, v[76:79] offset:3584
	ds_write_b128 v172, v[72:75] offset:4480
	ds_write_b128 v172, v[68:71] offset:5376
	ds_write_b128 v172, v[84:87] offset:6272
	ds_write_b128 v172, v[120:123] offset:7168
	ds_write_b128 v172, v[112:115] offset:8064
	ds_write_b128 v172, v[100:103] offset:8960
	ds_write_b128 v172, v[96:99] offset:9856
	ds_write_b128 v172, v[104:107] offset:10752
	ds_write_b128 v172, v[108:111] offset:11648
	ds_write_b128 v175, v[116:119] offset:12544
	ds_write_b128 v175, v[4:7] offset:13440
	ds_write_b128 v175, v[164:167] offset:14336
	ds_write_b128 v175, v[152:155] offset:15232
	ds_write_b128 v175, v[124:127] offset:16128
	ds_write_b128 v175, v[156:159] offset:17024
	ds_write_b128 v175, v[160:163] offset:17920
	ds_write_b128 v173, v[168:171] offset:18816
	ds_write_b128 v173, v[196:199] offset:19712
	ds_write_b128 v173, v[192:195] offset:20608
	ds_write_b128 v173, v[12:15] offset:21504
	ds_write_b128 v173, v[8:11] offset:22400
	ds_write_b128 v173, v[184:187] offset:23296
	ds_write_b128 v173, v[188:191] offset:24192
	ds_write_b128 v174, v[0:3] offset:25088
	ds_write_b128 v174, v[32:35] offset:25984
	ds_write_b128 v174, v[24:27] offset:26880
	ds_write_b128 v174, v[16:19] offset:27776
	ds_write_b128 v174, v[20:23] offset:28672
	ds_write_b128 v174, v[28:31] offset:29568
	ds_write_b128 v174, v[36:39] offset:30464
	v_lshl_add_u64 v[0:1], s[8:9], 0, v[178:179]
	s_movk_i32 s20, 0x1000
	v_add_co_u32_e64 v2, s[2:3], s20, v0
	s_mov_b64 s[12:13], 0x1840
	v_accvgpr_write_b32 a90, v228
	v_accvgpr_write_b32 a86, v224
	v_addc_co_u32_e64 v3, s[2:3], 0, v1, s[2:3]
	v_lshl_add_u64 v[0:1], v[0:1], 0, s[12:13]
	v_accvgpr_write_b32 a91, v229
	v_accvgpr_write_b32 a92, v230
	;; [unrolled: 1-line block ×6, first 2 shown]
	s_waitcnt lgkmcnt(0)
	; wave barrier
	s_waitcnt lgkmcnt(0)
	global_load_dwordx4 v[224:227], v[2:3], off offset:2112
	global_load_dwordx4 v[66:69], v[0:1], off offset:16
	;; [unrolled: 1-line block ×4, first 2 shown]
	v_accvgpr_read_b32 v0, a16
	v_lshlrev_b32_e32 v178, 4, v0
	v_lshl_add_u64 v[0:1], s[8:9], 0, v[178:179]
	v_add_co_u32_e64 v2, s[2:3], s20, v0
	v_accvgpr_write_b32 a255, v135
	s_nop 0
	v_addc_co_u32_e64 v3, s[2:3], 0, v1, s[2:3]
	v_lshl_add_u64 v[0:1], v[0:1], 0, s[12:13]
	global_load_dwordx4 v[70:73], v[2:3], off offset:2112
	global_load_dwordx4 v[112:115], v[0:1], off offset:16
	;; [unrolled: 1-line block ×4, first 2 shown]
	v_accvgpr_read_b32 v0, a15
	v_lshlrev_b32_e32 v178, 4, v0
	v_lshl_add_u64 v[0:1], s[8:9], 0, v[178:179]
	v_add_co_u32_e64 v2, s[2:3], s20, v0
	v_accvgpr_write_b32 a251, v131
	s_nop 0
	v_addc_co_u32_e64 v3, s[2:3], 0, v1, s[2:3]
	v_lshl_add_u64 v[0:1], v[0:1], 0, s[12:13]
	v_accvgpr_write_b32 a254, v134
	v_accvgpr_write_b32 a253, v133
	;; [unrolled: 1-line block ×6, first 2 shown]
	global_load_dwordx4 v[116:119], v[2:3], off offset:2112
	global_load_dwordx4 v[132:135], v[0:1], off offset:16
	;; [unrolled: 1-line block ×4, first 2 shown]
	v_accvgpr_read_b32 v0, a14
	v_lshlrev_b32_e32 v178, 4, v0
	v_lshl_add_u64 v[0:1], s[8:9], 0, v[178:179]
	v_add_co_u32_e64 v2, s[2:3], s20, v0
	v_accvgpr_write_b32 a141, v139
	s_nop 0
	v_addc_co_u32_e64 v3, s[2:3], 0, v1, s[2:3]
	v_accvgpr_write_b32 a140, v138
	v_accvgpr_write_b32 a139, v137
	;; [unrolled: 1-line block ×3, first 2 shown]
	global_load_dwordx4 v[136:139], v[2:3], off offset:2112
	v_lshl_add_u64 v[0:1], v[0:1], 0, s[12:13]
	global_load_dwordx4 v[168:171], v[0:1], off offset:16
	global_load_dwordx4 v[164:167], v[0:1], off offset:32
	;; [unrolled: 1-line block ×3, first 2 shown]
	ds_read_b128 v[0:3], v172 offset:6272
	ds_read_b128 v[4:7], v172 offset:12544
	;; [unrolled: 1-line block ×16, first 2 shown]
	v_accvgpr_write_b32 a0, v180
	v_accvgpr_write_b32 a235, v207
	;; [unrolled: 1-line block ×9, first 2 shown]
	s_mov_b32 s15, 0xbfee6f0e
	v_accvgpr_write_b32 a238, v210
	v_accvgpr_write_b32 a237, v209
	;; [unrolled: 1-line block ×3, first 2 shown]
	s_mov_b32 s19, 0xbfe2cf23
	v_accvgpr_write_b32 a243, v215
	v_accvgpr_write_b32 a242, v214
	v_accvgpr_write_b32 a241, v213
	v_accvgpr_write_b32 a240, v212
	v_accvgpr_write_b32 a247, v219
	v_accvgpr_write_b32 a246, v218
	v_accvgpr_write_b32 a245, v217
	v_accvgpr_write_b32 a244, v216
	v_accvgpr_write_b32 a68, v220
	v_accvgpr_write_b32 a69, v221
	v_accvgpr_write_b32 a70, v222
	v_accvgpr_write_b32 a71, v223
	v_accvgpr_write_b32 a72, v250
	v_accvgpr_write_b32 a73, v251
	v_accvgpr_write_b32 a74, v252
	v_accvgpr_write_b32 a75, v253
	s_waitcnt vmcnt(14) lgkmcnt(14)
	v_mul_f64 v[98:99], v[4:5], v[68:69]
	v_mul_f64 v[48:49], v[2:3], v[226:227]
	v_fma_f64 v[92:93], v[0:1], v[224:225], -v[48:49]
	v_mul_f64 v[94:95], v[0:1], v[226:227]
	v_mul_f64 v[0:1], v[6:7], v[68:69]
	v_fma_f64 v[96:97], v[4:5], v[66:67], -v[0:1]
	s_waitcnt vmcnt(13) lgkmcnt(13)
	v_mul_f64 v[0:1], v[10:11], v[64:65]
	v_fma_f64 v[100:101], v[8:9], v[62:63], -v[0:1]
	s_waitcnt vmcnt(12) lgkmcnt(12)
	v_mul_f64 v[0:1], v[14:15], v[230:231]
	v_fma_f64 v[104:105], v[12:13], v[228:229], -v[0:1]
	v_accvgpr_write_b32 a105, v69
	v_accvgpr_write_b32 a104, v68
	s_waitcnt vmcnt(11) lgkmcnt(11)
	v_mul_f64 v[0:1], v[18:19], v[72:73]
	v_fma_f64 v[108:109], v[16:17], v[70:71], -v[0:1]
	s_waitcnt vmcnt(10) lgkmcnt(10)
	v_mul_f64 v[0:1], v[22:23], v[114:115]
	v_fma_f64 v[124:125], v[20:21], v[112:113], -v[0:1]
	;; [unrolled: 3-line block ×4, first 2 shown]
	v_accvgpr_write_b32 a103, v67
	v_accvgpr_write_b32 a102, v66
	v_fmac_f64_e32 v[98:99], v[6:7], v[66:67]
	v_accvgpr_write_b32 a109, v73
	v_mul_f64 v[110:111], v[16:17], v[72:73]
	v_accvgpr_write_b32 a108, v72
	v_accvgpr_write_b32 a107, v71
	;; [unrolled: 1-line block ×3, first 2 shown]
	v_mul_f64 v[158:159], v[28:29], v[76:77]
	s_waitcnt vmcnt(7) lgkmcnt(7)
	v_mul_f64 v[0:1], v[34:35], v[118:119]
	v_fma_f64 v[66:67], v[32:33], v[116:117], -v[0:1]
	s_waitcnt vmcnt(6) lgkmcnt(6)
	v_mul_f64 v[0:1], v[38:39], v[134:135]
	v_accvgpr_write_b32 a113, v77
	v_fma_f64 v[72:73], v[36:37], v[132:133], -v[0:1]
	s_waitcnt vmcnt(5) lgkmcnt(5)
	v_mul_f64 v[0:1], v[42:43], v[130:131]
	v_accvgpr_write_b32 a112, v76
	v_accvgpr_write_b32 a111, v75
	;; [unrolled: 1-line block ×3, first 2 shown]
	v_fmac_f64_e32 v[158:159], v[30:31], v[74:75]
	v_fma_f64 v[74:75], v[40:41], v[128:129], -v[0:1]
	s_waitcnt vmcnt(4) lgkmcnt(4)
	v_mul_f64 v[0:1], v[46:47], v[122:123]
	v_fma_f64 v[78:79], v[44:45], v[120:121], -v[0:1]
	s_waitcnt vmcnt(3) lgkmcnt(3)
	v_mul_f64 v[0:1], v[54:55], v[138:139]
	v_fma_f64 v[50:51], v[52:53], v[136:137], -v[0:1]
	s_waitcnt vmcnt(2) lgkmcnt(2)
	v_mul_f64 v[0:1], v[60:61], v[170:171]
	v_mul_f64 v[48:49], v[52:53], v[138:139]
	v_fma_f64 v[56:57], v[58:59], v[168:169], -v[0:1]
	v_mul_f64 v[52:53], v[58:59], v[170:171]
	s_waitcnt vmcnt(1) lgkmcnt(1)
	v_mul_f64 v[0:1], v[82:83], v[166:167]
	v_mul_f64 v[102:103], v[8:9], v[64:65]
	v_accvgpr_write_b32 a101, v65
	v_fmac_f64_e32 v[52:53], v[60:61], v[168:169]
	v_fma_f64 v[58:59], v[80:81], v[164:165], -v[0:1]
	s_waitcnt vmcnt(0) lgkmcnt(0)
	v_mul_f64 v[0:1], v[86:87], v[162:163]
	v_mul_f64 v[60:61], v[84:85], v[162:163]
	v_accvgpr_write_b32 a26, v160
	v_accvgpr_write_b32 a100, v64
	;; [unrolled: 1-line block ×4, first 2 shown]
	v_fmac_f64_e32 v[102:103], v[10:11], v[62:63]
	v_fma_f64 v[62:63], v[84:85], v[160:161], -v[0:1]
	v_accvgpr_write_b32 a27, v161
	v_accvgpr_write_b32 a28, v162
	;; [unrolled: 1-line block ×3, first 2 shown]
	v_fmac_f64_e32 v[60:61], v[86:87], v[160:161]
	v_accvgpr_read_b32 v160, a194
	v_mov_b32_e32 v161, v179
	v_lshl_add_u64 v[4:5], s[8:9], 0, v[160:161]
	v_add_co_u32_e64 v0, s[2:3], s20, v4
	v_fmac_f64_e32 v[94:95], v[2:3], v[224:225]
	s_nop 0
	v_addc_co_u32_e64 v1, s[2:3], 0, v5, s[2:3]
	global_load_dwordx4 v[8:11], v[0:1], off offset:2112
	ds_read_b128 v[0:3], v172 offset:9856
	v_fmac_f64_e32 v[48:49], v[54:55], v[136:137]
	v_mul_f64 v[54:55], v[80:81], v[166:167]
	v_mul_f64 v[64:65], v[32:33], v[118:119]
	v_fmac_f64_e32 v[54:55], v[82:83], v[164:165]
	ds_read_b128 v[80:83], v172 offset:24192
	v_lshl_add_u64 v[4:5], v[4:5], 0, s[12:13]
	v_fmac_f64_e32 v[64:65], v[34:35], v[116:117]
	v_mul_f64 v[68:69], v[36:37], v[134:135]
	v_fmac_f64_e32 v[68:69], v[38:39], v[132:133]
	v_fmac_f64_e32 v[110:111], v[18:19], v[70:71]
	v_mul_f64 v[70:71], v[40:41], v[130:131]
	v_fmac_f64_e32 v[70:71], v[42:43], v[128:129]
	v_mul_f64 v[76:77], v[44:45], v[122:123]
	;; [unrolled: 2-line block ×3, first 2 shown]
	v_accvgpr_write_b32 a121, v115
	v_accvgpr_write_b32 a120, v114
	;; [unrolled: 1-line block ×4, first 2 shown]
	v_fmac_f64_e32 v[126:127], v[22:23], v[112:113]
	v_accvgpr_write_b32 a22, v116
	v_accvgpr_write_b32 a23, v117
	;; [unrolled: 1-line block ×8, first 2 shown]
	v_mul_f64 v[154:155], v[24:25], v[90:91]
	v_fmac_f64_e32 v[154:155], v[26:27], v[88:89]
	v_accvgpr_write_b32 a14, v128
	v_accvgpr_write_b32 a15, v129
	;; [unrolled: 1-line block ×4, first 2 shown]
	v_accvgpr_read_b32 v130, a4
	v_mov_b32_e32 v131, v179
	v_mul_f64 v[106:107], v[12:13], v[230:231]
	v_fmac_f64_e32 v[106:107], v[14:15], v[228:229]
	v_accvgpr_write_b32 a117, v91
	v_accvgpr_write_b32 a116, v90
	;; [unrolled: 1-line block ×4, first 2 shown]
	v_add_f64 v[88:89], v[94:95], -v[98:99]
	v_add_f64 v[90:91], v[106:107], -v[102:103]
	v_add_f64 v[202:203], v[94:95], -v[106:107]
	v_add_f64 v[206:207], v[92:93], -v[104:105]
	v_add_f64 v[200:201], v[88:89], v[90:91]
	v_add_f64 v[204:205], v[98:99], -v[102:103]
	v_add_f64 v[208:209], v[96:97], -v[100:101]
	v_accvgpr_write_b32 a122, v132
	v_accvgpr_write_b32 a130, v136
	;; [unrolled: 1-line block ×16, first 2 shown]
	s_waitcnt vmcnt(0) lgkmcnt(1)
	v_mul_f64 v[6:7], v[2:3], v[10:11]
	v_mul_f64 v[32:33], v[0:1], v[10:11]
	v_accvgpr_write_b32 a63, v11
	v_fma_f64 v[34:35], v[0:1], v[8:9], -v[6:7]
	v_accvgpr_write_b32 a62, v10
	v_accvgpr_write_b32 a61, v9
	v_accvgpr_write_b32 a60, v8
	v_fmac_f64_e32 v[32:33], v[2:3], v[8:9]
	global_load_dwordx4 v[8:11], v[4:5], off offset:16
	ds_read_b128 v[0:3], v172 offset:16128
	s_waitcnt vmcnt(0) lgkmcnt(0)
	v_mul_f64 v[6:7], v[2:3], v[10:11]
	v_mul_f64 v[36:37], v[0:1], v[10:11]
	v_accvgpr_write_b32 a57, v11
	v_fma_f64 v[38:39], v[0:1], v[8:9], -v[6:7]
	v_accvgpr_write_b32 a56, v10
	v_accvgpr_write_b32 a55, v9
	v_accvgpr_write_b32 a54, v8
	v_fmac_f64_e32 v[36:37], v[2:3], v[8:9]
	global_load_dwordx4 v[8:11], v[4:5], off offset:32
	ds_read_b128 v[0:3], v172 offset:22400
	s_waitcnt vmcnt(0) lgkmcnt(0)
	v_mul_f64 v[6:7], v[2:3], v[10:11]
	v_mul_f64 v[40:41], v[0:1], v[10:11]
	v_accvgpr_write_b32 a53, v11
	v_fma_f64 v[42:43], v[0:1], v[8:9], -v[6:7]
	v_accvgpr_write_b32 a52, v10
	v_accvgpr_write_b32 a51, v9
	v_accvgpr_write_b32 a50, v8
	v_fmac_f64_e32 v[40:41], v[2:3], v[8:9]
	global_load_dwordx4 v[6:9], v[4:5], off offset:48
	ds_read_b128 v[0:3], v172 offset:28672
	s_waitcnt vmcnt(0) lgkmcnt(0)
	v_mul_f64 v[4:5], v[2:3], v[8:9]
	v_fma_f64 v[46:47], v[0:1], v[6:7], -v[4:5]
	v_mul_f64 v[44:45], v[0:1], v[8:9]
	v_accvgpr_read_b32 v0, a34
	v_lshlrev_b32_e32 v178, 4, v0
	v_lshl_add_u64 v[4:5], s[8:9], 0, v[178:179]
	v_add_co_u32_e64 v0, s[2:3], s20, v4
	v_accvgpr_write_b32 a49, v9
	s_nop 0
	v_addc_co_u32_e64 v1, s[2:3], 0, v5, s[2:3]
	v_accvgpr_write_b32 a48, v8
	v_accvgpr_write_b32 a47, v7
	;; [unrolled: 1-line block ×3, first 2 shown]
	global_load_dwordx4 v[8:11], v[0:1], off offset:2112
	v_lshl_add_u64 v[4:5], v[4:5], 0, s[12:13]
	global_load_dwordx4 v[112:115], v[4:5], off offset:16
	global_load_dwordx4 v[116:119], v[4:5], off offset:32
	;; [unrolled: 1-line block ×3, first 2 shown]
	v_fmac_f64_e32 v[44:45], v[2:3], v[6:7]
	ds_read_b128 v[0:3], v172 offset:10752
	v_lshlrev_b32_e32 v178, 4, v254
	s_waitcnt vmcnt(3) lgkmcnt(0)
	v_mul_f64 v[6:7], v[2:3], v[10:11]
	v_mul_f64 v[16:17], v[0:1], v[10:11]
	v_fma_f64 v[18:19], v[0:1], v[8:9], -v[6:7]
	v_fmac_f64_e32 v[16:17], v[2:3], v[8:9]
	ds_read_b128 v[0:3], v172 offset:17024
	v_accvgpr_write_b32 a37, v11
	v_accvgpr_write_b32 a36, v10
	;; [unrolled: 1-line block ×4, first 2 shown]
	s_waitcnt vmcnt(2) lgkmcnt(0)
	v_mul_f64 v[6:7], v[2:3], v[114:115]
	v_mul_f64 v[20:21], v[0:1], v[114:115]
	v_fma_f64 v[22:23], v[0:1], v[112:113], -v[6:7]
	v_fmac_f64_e32 v[20:21], v[2:3], v[112:113]
	ds_read_b128 v[0:3], v172 offset:23296
	ds_read_b128 v[10:13], v172 offset:17920
	s_waitcnt vmcnt(1) lgkmcnt(1)
	v_mul_f64 v[6:7], v[2:3], v[118:119]
	v_mul_f64 v[24:25], v[0:1], v[118:119]
	v_fma_f64 v[26:27], v[0:1], v[116:117], -v[6:7]
	v_fmac_f64_e32 v[24:25], v[2:3], v[116:117]
	ds_read_b128 v[0:3], v172 offset:29568
	v_lshl_add_u64 v[6:7], s[8:9], 0, v[130:131]
	v_lshl_add_u64 v[14:15], v[6:7], 0, s[12:13]
	global_load_dwordx4 v[188:191], v[14:15], off offset:16
	global_load_dwordx4 v[192:195], v[14:15], off offset:32
	;; [unrolled: 1-line block ×3, first 2 shown]
	s_waitcnt vmcnt(3) lgkmcnt(0)
	v_mul_f64 v[4:5], v[2:3], v[122:123]
	v_fma_f64 v[30:31], v[0:1], v[120:121], -v[4:5]
	v_mul_f64 v[28:29], v[0:1], v[122:123]
	v_add_co_u32_e64 v0, s[2:3], s20, v6
	v_fmac_f64_e32 v[28:29], v[2:3], v[120:121]
	s_nop 0
	v_addc_co_u32_e64 v1, s[2:3], 0, v7, s[2:3]
	global_load_dwordx4 v[184:187], v[0:1], off offset:2112
	ds_read_b128 v[0:3], v172 offset:11648
	s_mov_b32 s8, 0x134454ff
	s_mov_b32 s9, 0x3fee6f0e
	;; [unrolled: 1-line block ×8, first 2 shown]
	s_waitcnt vmcnt(2)
	v_mul_f64 v[6:7], v[82:83], v[194:195]
	s_waitcnt vmcnt(0) lgkmcnt(0)
	v_mul_f64 v[4:5], v[2:3], v[186:187]
	v_fma_f64 v[4:5], v[0:1], v[184:185], -v[4:5]
	v_mul_f64 v[0:1], v[0:1], v[186:187]
	v_fmac_f64_e32 v[0:1], v[2:3], v[184:185]
	v_mul_f64 v[2:3], v[12:13], v[190:191]
	v_fma_f64 v[8:9], v[10:11], v[188:189], -v[2:3]
	v_mul_f64 v[2:3], v[10:11], v[190:191]
	v_fmac_f64_e32 v[2:3], v[12:13], v[188:189]
	v_fma_f64 v[12:13], v[80:81], v[192:193], -v[6:7]
	v_mul_f64 v[6:7], v[80:81], v[194:195]
	v_fmac_f64_e32 v[6:7], v[82:83], v[192:193]
	ds_read_b128 v[80:83], v172 offset:30464
	s_waitcnt lgkmcnt(0)
	v_mul_f64 v[10:11], v[82:83], v[198:199]
	v_fma_f64 v[14:15], v[80:81], v[196:197], -v[10:11]
	v_mul_f64 v[10:11], v[80:81], v[198:199]
	v_fmac_f64_e32 v[10:11], v[82:83], v[196:197]
	ds_read_b128 v[80:83], v172
	s_waitcnt lgkmcnt(0)
	v_add_f64 v[84:85], v[80:81], v[92:93]
	v_add_f64 v[86:87], v[82:83], v[94:95]
	v_add_f64 v[84:85], v[84:85], v[96:97]
	v_add_f64 v[86:87], v[86:87], v[98:99]
	v_add_f64 v[84:85], v[84:85], v[100:101]
	v_add_f64 v[86:87], v[86:87], v[102:103]
	v_add_f64 v[84:85], v[84:85], v[104:105]
	v_add_f64 v[86:87], v[86:87], v[106:107]
	ds_write_b128 v172, v[84:87]
	v_add_f64 v[84:85], v[92:93], -v[96:97]
	v_add_f64 v[86:87], v[104:105], -v[100:101]
	v_add_f64 v[182:183], v[84:85], v[86:87]
	v_add_f64 v[84:85], v[96:97], v[100:101]
	v_add_f64 v[86:87], v[98:99], v[102:103]
	v_fma_f64 v[84:85], -0.5, v[84:85], v[80:81]
	v_fma_f64 v[86:87], -0.5, v[86:87], v[82:83]
	v_fma_f64 v[88:89], s[8:9], v[202:203], v[84:85]
	v_fma_f64 v[90:91], s[14:15], v[206:207], v[86:87]
	v_fmac_f64_e32 v[88:89], s[2:3], v[204:205]
	v_fmac_f64_e32 v[90:91], s[18:19], v[208:209]
	;; [unrolled: 1-line block ×4, first 2 shown]
	ds_write_b128 v172, v[88:91] offset:6272
	v_add_f64 v[88:89], v[92:93], v[104:105]
	v_fmac_f64_e32 v[80:81], -0.5, v[88:89]
	v_add_f64 v[88:89], v[96:97], -v[92:93]
	v_add_f64 v[90:91], v[100:101], -v[104:105]
	v_add_f64 v[92:93], v[88:89], v[90:91]
	v_add_f64 v[88:89], v[94:95], v[106:107]
	v_fmac_f64_e32 v[82:83], -0.5, v[88:89]
	v_add_f64 v[88:89], v[98:99], -v[94:95]
	v_add_f64 v[90:91], v[102:103], -v[106:107]
	v_add_f64 v[94:95], v[88:89], v[90:91]
	v_fma_f64 v[88:89], s[14:15], v[204:205], v[80:81]
	v_fma_f64 v[90:91], s[8:9], v[208:209], v[82:83]
	v_fmac_f64_e32 v[80:81], s[8:9], v[204:205]
	v_fmac_f64_e32 v[82:83], s[14:15], v[208:209]
	;; [unrolled: 1-line block ×6, first 2 shown]
	ds_write_b128 v172, v[80:83] offset:18816
	ds_read_b128 v[80:83], v172 offset:896
	v_fmac_f64_e32 v[84:85], s[14:15], v[202:203]
	v_fmac_f64_e32 v[86:87], s[8:9], v[206:207]
	;; [unrolled: 1-line block ×7, first 2 shown]
	ds_read_b128 v[200:203], v172 offset:5376
	ds_write_b128 v172, v[84:87] offset:25088
	s_waitcnt lgkmcnt(2)
	v_add_f64 v[84:85], v[80:81], v[108:109]
	v_add_f64 v[86:87], v[82:83], v[110:111]
	;; [unrolled: 1-line block ×8, first 2 shown]
	v_fmac_f64_e32 v[90:91], s[18:19], v[206:207]
	ds_write_b128 v172, v[84:87] offset:896
	v_add_f64 v[84:85], v[108:109], -v[124:125]
	v_add_f64 v[86:87], v[156:157], -v[152:153]
	v_fmac_f64_e32 v[88:89], s[12:13], v[92:93]
	v_fmac_f64_e32 v[90:91], s[12:13], v[94:95]
	v_add_f64 v[92:93], v[84:85], v[86:87]
	v_add_f64 v[84:85], v[124:125], v[152:153]
	;; [unrolled: 1-line block ×3, first 2 shown]
	ds_write_b128 v172, v[88:91] offset:12544
	v_fma_f64 v[84:85], -0.5, v[84:85], v[80:81]
	v_fma_f64 v[86:87], -0.5, v[86:87], v[82:83]
	v_add_f64 v[88:89], v[110:111], -v[126:127]
	v_add_f64 v[90:91], v[158:159], -v[154:155]
	;; [unrolled: 1-line block ×4, first 2 shown]
	v_add_f64 v[94:95], v[88:89], v[90:91]
	v_add_f64 v[98:99], v[126:127], -v[154:155]
	v_fma_f64 v[88:89], s[8:9], v[96:97], v[84:85]
	v_fma_f64 v[90:91], s[14:15], v[100:101], v[86:87]
	v_add_f64 v[102:103], v[124:125], -v[152:153]
	v_fmac_f64_e32 v[88:89], s[2:3], v[98:99]
	v_fmac_f64_e32 v[90:91], s[18:19], v[102:103]
	;; [unrolled: 1-line block ×4, first 2 shown]
	ds_write_b128 v172, v[88:91] offset:7168
	v_add_f64 v[88:89], v[108:109], v[156:157]
	v_fmac_f64_e32 v[80:81], -0.5, v[88:89]
	v_add_f64 v[88:89], v[124:125], -v[108:109]
	v_add_f64 v[90:91], v[152:153], -v[156:157]
	v_add_f64 v[104:105], v[88:89], v[90:91]
	v_add_f64 v[88:89], v[110:111], v[158:159]
	v_fmac_f64_e32 v[82:83], -0.5, v[88:89]
	v_add_f64 v[88:89], v[126:127], -v[110:111]
	v_add_f64 v[90:91], v[154:155], -v[158:159]
	v_add_f64 v[106:107], v[88:89], v[90:91]
	v_fma_f64 v[88:89], s[14:15], v[98:99], v[80:81]
	v_fma_f64 v[90:91], s[8:9], v[102:103], v[82:83]
	v_fmac_f64_e32 v[80:81], s[8:9], v[98:99]
	v_fmac_f64_e32 v[82:83], s[14:15], v[102:103]
	;; [unrolled: 1-line block ×6, first 2 shown]
	ds_write_b128 v172, v[80:83] offset:19712
	ds_read_b128 v[80:83], v172 offset:1792
	v_fmac_f64_e32 v[84:85], s[14:15], v[96:97]
	v_fmac_f64_e32 v[86:87], s[8:9], v[100:101]
	;; [unrolled: 1-line block ×6, first 2 shown]
	ds_write_b128 v172, v[84:87] offset:25984
	s_waitcnt lgkmcnt(1)
	v_add_f64 v[84:85], v[80:81], v[66:67]
	v_add_f64 v[86:87], v[82:83], v[64:65]
	;; [unrolled: 1-line block ×8, first 2 shown]
	v_fmac_f64_e32 v[88:89], s[2:3], v[96:97]
	v_fmac_f64_e32 v[90:91], s[18:19], v[100:101]
	ds_write_b128 v172, v[84:87] offset:1792
	v_add_f64 v[84:85], v[66:67], -v[72:73]
	v_add_f64 v[86:87], v[78:79], -v[74:75]
	v_fmac_f64_e32 v[88:89], s[12:13], v[104:105]
	v_fmac_f64_e32 v[90:91], s[12:13], v[106:107]
	v_add_f64 v[92:93], v[84:85], v[86:87]
	v_add_f64 v[84:85], v[72:73], v[74:75]
	;; [unrolled: 1-line block ×3, first 2 shown]
	ds_write_b128 v172, v[88:91] offset:13440
	v_fma_f64 v[84:85], -0.5, v[84:85], v[80:81]
	v_fma_f64 v[86:87], -0.5, v[86:87], v[82:83]
	v_add_f64 v[88:89], v[64:65], -v[68:69]
	v_add_f64 v[90:91], v[76:77], -v[70:71]
	;; [unrolled: 1-line block ×4, first 2 shown]
	v_add_f64 v[94:95], v[88:89], v[90:91]
	v_add_f64 v[98:99], v[68:69], -v[70:71]
	v_fma_f64 v[88:89], s[8:9], v[96:97], v[84:85]
	v_fma_f64 v[90:91], s[14:15], v[100:101], v[86:87]
	v_add_f64 v[102:103], v[72:73], -v[74:75]
	v_fmac_f64_e32 v[88:89], s[2:3], v[98:99]
	v_fmac_f64_e32 v[90:91], s[18:19], v[102:103]
	;; [unrolled: 1-line block ×4, first 2 shown]
	ds_write_b128 v172, v[88:91] offset:8064
	v_add_f64 v[88:89], v[66:67], v[78:79]
	v_add_f64 v[66:67], v[72:73], -v[66:67]
	v_add_f64 v[72:73], v[74:75], -v[78:79]
	v_add_f64 v[72:73], v[66:67], v[72:73]
	v_add_f64 v[66:67], v[64:65], v[76:77]
	v_fmac_f64_e32 v[80:81], -0.5, v[88:89]
	v_fmac_f64_e32 v[82:83], -0.5, v[66:67]
	v_add_f64 v[64:65], v[68:69], -v[64:65]
	v_add_f64 v[66:67], v[70:71], -v[76:77]
	v_add_f64 v[68:69], v[64:65], v[66:67]
	v_fma_f64 v[64:65], s[14:15], v[98:99], v[80:81]
	v_fma_f64 v[66:67], s[8:9], v[102:103], v[82:83]
	v_fmac_f64_e32 v[64:65], s[2:3], v[96:97]
	v_fmac_f64_e32 v[66:67], s[18:19], v[100:101]
	;; [unrolled: 1-line block ×4, first 2 shown]
	ds_write_b128 v172, v[64:67] offset:14336
	ds_read_b128 v[64:67], v172 offset:2688
	v_fmac_f64_e32 v[82:83], s[14:15], v[102:103]
	v_fmac_f64_e32 v[82:83], s[2:3], v[100:101]
	;; [unrolled: 1-line block ×4, first 2 shown]
	s_waitcnt lgkmcnt(0)
	v_add_f64 v[68:69], v[64:65], v[50:51]
	v_add_f64 v[70:71], v[66:67], v[48:49]
	;; [unrolled: 1-line block ×6, first 2 shown]
	v_fmac_f64_e32 v[84:85], s[14:15], v[96:97]
	v_fmac_f64_e32 v[86:87], s[8:9], v[100:101]
	v_add_f64 v[68:69], v[68:69], v[62:63]
	v_add_f64 v[70:71], v[70:71], v[60:61]
	v_fmac_f64_e32 v[80:81], s[18:19], v[96:97]
	v_fmac_f64_e32 v[84:85], s[18:19], v[98:99]
	;; [unrolled: 1-line block ×3, first 2 shown]
	ds_write_b128 v172, v[68:71] offset:2688
	v_add_f64 v[68:69], v[50:51], -v[56:57]
	v_add_f64 v[70:71], v[62:63], -v[58:59]
	v_fmac_f64_e32 v[80:81], s[12:13], v[72:73]
	v_fmac_f64_e32 v[84:85], s[12:13], v[92:93]
	;; [unrolled: 1-line block ×3, first 2 shown]
	v_add_f64 v[76:77], v[68:69], v[70:71]
	v_add_f64 v[68:69], v[56:57], v[58:59]
	;; [unrolled: 1-line block ×3, first 2 shown]
	ds_write_b128 v172, v[80:83] offset:20608
	ds_write_b128 v172, v[84:87] offset:26880
	v_fma_f64 v[68:69], -0.5, v[68:69], v[64:65]
	v_fma_f64 v[70:71], -0.5, v[70:71], v[66:67]
	v_add_f64 v[72:73], v[48:49], -v[52:53]
	v_add_f64 v[74:75], v[60:61], -v[54:55]
	;; [unrolled: 1-line block ×4, first 2 shown]
	v_add_f64 v[78:79], v[72:73], v[74:75]
	v_add_f64 v[82:83], v[52:53], -v[54:55]
	v_fma_f64 v[72:73], s[8:9], v[80:81], v[68:69]
	v_fma_f64 v[74:75], s[14:15], v[84:85], v[70:71]
	v_add_f64 v[86:87], v[56:57], -v[58:59]
	v_fmac_f64_e32 v[72:73], s[2:3], v[82:83]
	v_fmac_f64_e32 v[74:75], s[18:19], v[86:87]
	;; [unrolled: 1-line block ×4, first 2 shown]
	ds_write_b128 v172, v[72:75] offset:8960
	v_add_f64 v[72:73], v[50:51], v[62:63]
	v_add_f64 v[50:51], v[56:57], -v[50:51]
	v_add_f64 v[56:57], v[58:59], -v[62:63]
	v_add_f64 v[56:57], v[50:51], v[56:57]
	v_add_f64 v[50:51], v[48:49], v[60:61]
	v_fmac_f64_e32 v[64:65], -0.5, v[72:73]
	v_fmac_f64_e32 v[66:67], -0.5, v[50:51]
	v_add_f64 v[48:49], v[52:53], -v[48:49]
	v_add_f64 v[50:51], v[54:55], -v[60:61]
	v_add_f64 v[52:53], v[48:49], v[50:51]
	v_fma_f64 v[48:49], s[14:15], v[82:83], v[64:65]
	v_fma_f64 v[50:51], s[8:9], v[86:87], v[66:67]
	v_fmac_f64_e32 v[48:49], s[2:3], v[80:81]
	v_fmac_f64_e32 v[50:51], s[18:19], v[84:85]
	;; [unrolled: 1-line block ×4, first 2 shown]
	ds_write_b128 v172, v[48:51] offset:15232
	ds_read_b128 v[48:51], v172 offset:3584
	v_fmac_f64_e32 v[66:67], s[14:15], v[86:87]
	v_fmac_f64_e32 v[66:67], s[2:3], v[84:85]
	;; [unrolled: 1-line block ×4, first 2 shown]
	s_waitcnt lgkmcnt(0)
	v_add_f64 v[52:53], v[48:49], v[34:35]
	v_add_f64 v[54:55], v[50:51], v[32:33]
	;; [unrolled: 1-line block ×6, first 2 shown]
	v_fmac_f64_e32 v[68:69], s[14:15], v[80:81]
	v_fmac_f64_e32 v[70:71], s[8:9], v[84:85]
	v_add_f64 v[52:53], v[52:53], v[46:47]
	v_add_f64 v[54:55], v[54:55], v[44:45]
	v_fmac_f64_e32 v[64:65], s[18:19], v[80:81]
	v_fmac_f64_e32 v[68:69], s[18:19], v[82:83]
	v_fmac_f64_e32 v[70:71], s[2:3], v[86:87]
	ds_write_b128 v172, v[52:55] offset:3584
	v_add_f64 v[52:53], v[34:35], -v[38:39]
	v_add_f64 v[54:55], v[46:47], -v[42:43]
	v_fmac_f64_e32 v[64:65], s[12:13], v[56:57]
	v_fmac_f64_e32 v[68:69], s[12:13], v[76:77]
	;; [unrolled: 1-line block ×3, first 2 shown]
	v_add_f64 v[60:61], v[52:53], v[54:55]
	v_add_f64 v[52:53], v[38:39], v[42:43]
	;; [unrolled: 1-line block ×3, first 2 shown]
	ds_write_b128 v172, v[64:67] offset:21504
	ds_write_b128 v172, v[68:71] offset:27776
	v_fma_f64 v[52:53], -0.5, v[52:53], v[48:49]
	v_fma_f64 v[54:55], -0.5, v[54:55], v[50:51]
	v_add_f64 v[56:57], v[32:33], -v[36:37]
	v_add_f64 v[58:59], v[44:45], -v[40:41]
	;; [unrolled: 1-line block ×4, first 2 shown]
	v_add_f64 v[62:63], v[56:57], v[58:59]
	v_add_f64 v[66:67], v[36:37], -v[40:41]
	v_fma_f64 v[56:57], s[8:9], v[64:65], v[52:53]
	v_fma_f64 v[58:59], s[14:15], v[68:69], v[54:55]
	v_add_f64 v[70:71], v[38:39], -v[42:43]
	v_fmac_f64_e32 v[56:57], s[2:3], v[66:67]
	v_fmac_f64_e32 v[58:59], s[18:19], v[70:71]
	;; [unrolled: 1-line block ×4, first 2 shown]
	ds_write_b128 v172, v[56:59] offset:9856
	v_add_f64 v[56:57], v[34:35], v[46:47]
	v_add_f64 v[34:35], v[38:39], -v[34:35]
	v_add_f64 v[38:39], v[42:43], -v[46:47]
	v_add_f64 v[38:39], v[34:35], v[38:39]
	v_add_f64 v[34:35], v[32:33], v[44:45]
	v_fmac_f64_e32 v[48:49], -0.5, v[56:57]
	v_fmac_f64_e32 v[50:51], -0.5, v[34:35]
	v_add_f64 v[32:33], v[36:37], -v[32:33]
	v_add_f64 v[34:35], v[40:41], -v[44:45]
	v_add_f64 v[36:37], v[32:33], v[34:35]
	v_fma_f64 v[32:33], s[14:15], v[66:67], v[48:49]
	v_fma_f64 v[34:35], s[8:9], v[70:71], v[50:51]
	v_fmac_f64_e32 v[32:33], s[2:3], v[64:65]
	v_fmac_f64_e32 v[34:35], s[18:19], v[68:69]
	;; [unrolled: 1-line block ×4, first 2 shown]
	ds_write_b128 v172, v[32:35] offset:16128
	ds_read_b128 v[32:35], v172 offset:4480
	v_fmac_f64_e32 v[48:49], s[8:9], v[66:67]
	v_fmac_f64_e32 v[50:51], s[14:15], v[70:71]
	;; [unrolled: 1-line block ×6, first 2 shown]
	s_waitcnt lgkmcnt(0)
	v_add_f64 v[36:37], v[32:33], v[18:19]
	v_add_f64 v[38:39], v[34:35], v[16:17]
	;; [unrolled: 1-line block ×8, first 2 shown]
	ds_write_b128 v172, v[36:39] offset:4480
	v_add_f64 v[36:37], v[18:19], -v[22:23]
	v_add_f64 v[38:39], v[30:31], -v[26:27]
	v_add_f64 v[40:41], v[36:37], v[38:39]
	v_add_f64 v[36:37], v[22:23], v[26:27]
	v_fma_f64 v[208:209], -0.5, v[36:37], v[32:33]
	v_add_f64 v[36:37], v[20:21], v[24:25]
	ds_write_b128 v172, v[48:51] offset:22400
	v_fma_f64 v[210:211], -0.5, v[36:37], v[34:35]
	v_add_f64 v[36:37], v[16:17], -v[20:21]
	v_add_f64 v[38:39], v[28:29], -v[24:25]
	;; [unrolled: 1-line block ×4, first 2 shown]
	v_add_f64 v[42:43], v[36:37], v[38:39]
	v_add_f64 v[46:47], v[20:21], -v[24:25]
	v_fma_f64 v[36:37], s[8:9], v[44:45], v[208:209]
	v_fma_f64 v[38:39], s[14:15], v[48:49], v[210:211]
	v_add_f64 v[50:51], v[22:23], -v[26:27]
	v_fmac_f64_e32 v[36:37], s[2:3], v[46:47]
	v_fmac_f64_e32 v[38:39], s[18:19], v[50:51]
	;; [unrolled: 1-line block ×4, first 2 shown]
	ds_write_b128 v172, v[36:39] offset:10752
	v_add_f64 v[36:37], v[18:19], v[30:31]
	v_add_f64 v[18:19], v[22:23], -v[18:19]
	v_add_f64 v[22:23], v[26:27], -v[30:31]
	v_add_f64 v[22:23], v[18:19], v[22:23]
	v_add_f64 v[18:19], v[16:17], v[28:29]
	v_fmac_f64_e32 v[32:33], -0.5, v[36:37]
	v_fmac_f64_e32 v[34:35], -0.5, v[18:19]
	v_add_f64 v[16:17], v[20:21], -v[16:17]
	v_add_f64 v[18:19], v[24:25], -v[28:29]
	v_add_f64 v[20:21], v[16:17], v[18:19]
	v_fma_f64 v[16:17], s[14:15], v[46:47], v[32:33]
	v_fma_f64 v[18:19], s[8:9], v[50:51], v[34:35]
	v_fmac_f64_e32 v[16:17], s[2:3], v[44:45]
	v_fmac_f64_e32 v[18:19], s[18:19], v[48:49]
	;; [unrolled: 1-line block ×4, first 2 shown]
	ds_write_b128 v172, v[16:19] offset:17024
	v_fmac_f64_e32 v[34:35], s[14:15], v[50:51]
	v_add_f64 v[16:17], v[4:5], -v[8:9]
	v_add_f64 v[18:19], v[14:15], -v[12:13]
	v_fmac_f64_e32 v[32:33], s[8:9], v[46:47]
	v_fmac_f64_e32 v[34:35], s[2:3], v[48:49]
	v_add_f64 v[16:17], v[16:17], v[18:19]
	v_add_f64 v[18:19], v[8:9], v[12:13]
	v_fmac_f64_e32 v[32:33], s[18:19], v[44:45]
	v_fmac_f64_e32 v[34:35], s[12:13], v[20:21]
	v_fma_f64 v[212:213], -0.5, v[18:19], v[200:201]
	v_add_f64 v[20:21], v[0:1], -v[10:11]
	v_fmac_f64_e32 v[32:33], s[12:13], v[22:23]
	v_add_f64 v[22:23], v[2:3], -v[6:7]
	v_fma_f64 v[18:19], s[8:9], v[20:21], v[212:213]
	v_fmac_f64_e32 v[212:213], s[14:15], v[20:21]
	v_fmac_f64_e32 v[18:19], s[2:3], v[22:23]
	;; [unrolled: 1-line block ×3, first 2 shown]
	v_add_f64 v[24:25], v[4:5], v[14:15]
	v_fmac_f64_e32 v[18:19], s[12:13], v[16:17]
	v_fmac_f64_e32 v[212:213], s[12:13], v[16:17]
	v_add_f64 v[16:17], v[200:201], v[4:5]
	v_fmac_f64_e32 v[200:201], -0.5, v[24:25]
	v_fma_f64 v[204:205], s[14:15], v[22:23], v[200:201]
	v_fmac_f64_e32 v[200:201], s[8:9], v[22:23]
	v_add_f64 v[16:17], v[16:17], v[8:9]
	v_fmac_f64_e32 v[204:205], s[2:3], v[20:21]
	v_fmac_f64_e32 v[200:201], s[18:19], v[20:21]
	v_add_f64 v[16:17], v[16:17], v[12:13]
	v_add_f64 v[20:21], v[202:203], v[0:1]
	v_add_f64 v[24:25], v[8:9], -v[4:5]
	v_add_f64 v[26:27], v[12:13], -v[14:15]
	v_add_f64 v[20:21], v[20:21], v[2:3]
	v_add_f64 v[22:23], v[16:17], v[14:15]
	;; [unrolled: 1-line block ×5, first 2 shown]
	v_fma_f64 v[214:215], -0.5, v[16:17], v[202:203]
	v_add_f64 v[4:5], v[4:5], -v[14:15]
	v_fmac_f64_e32 v[204:205], s[12:13], v[24:25]
	v_fmac_f64_e32 v[200:201], s[12:13], v[24:25]
	v_add_f64 v[24:25], v[20:21], v[10:11]
	v_add_f64 v[8:9], v[8:9], -v[12:13]
	v_add_f64 v[12:13], v[0:1], -v[2:3]
	;; [unrolled: 1-line block ×3, first 2 shown]
	v_fma_f64 v[20:21], s[14:15], v[4:5], v[214:215]
	v_fmac_f64_e32 v[214:215], s[8:9], v[4:5]
	v_add_f64 v[12:13], v[12:13], v[14:15]
	v_fmac_f64_e32 v[20:21], s[18:19], v[8:9]
	v_fmac_f64_e32 v[214:215], s[2:3], v[8:9]
	;; [unrolled: 1-line block ×4, first 2 shown]
	v_add_f64 v[12:13], v[0:1], v[10:11]
	v_fmac_f64_e32 v[52:53], s[14:15], v[64:65]
	v_fmac_f64_e32 v[54:55], s[8:9], v[68:69]
	;; [unrolled: 1-line block ×4, first 2 shown]
	v_fmac_f64_e32 v[202:203], -0.5, v[12:13]
	v_fmac_f64_e32 v[52:53], s[18:19], v[66:67]
	v_fmac_f64_e32 v[54:55], s[2:3], v[70:71]
	;; [unrolled: 1-line block ×4, first 2 shown]
	v_add_f64 v[0:1], v[2:3], -v[0:1]
	v_add_f64 v[2:3], v[6:7], -v[10:11]
	v_fma_f64 v[206:207], s[8:9], v[8:9], v[202:203]
	v_fmac_f64_e32 v[202:203], s[14:15], v[8:9]
	s_add_u32 s8, s16, 0x7a80
	v_fmac_f64_e32 v[52:53], s[12:13], v[60:61]
	v_fmac_f64_e32 v[54:55], s[12:13], v[62:63]
	;; [unrolled: 1-line block ×4, first 2 shown]
	v_add_f64 v[0:1], v[0:1], v[2:3]
	v_fmac_f64_e32 v[206:207], s[18:19], v[4:5]
	v_fmac_f64_e32 v[202:203], s[2:3], v[4:5]
	s_addc_u32 s9, s17, 0
	ds_write_b128 v172, v[52:55] offset:28672
	ds_write_b128 v172, v[32:35] offset:23296
	v_fmac_f64_e32 v[206:207], s[12:13], v[0:1]
	v_fmac_f64_e32 v[202:203], s[12:13], v[0:1]
	ds_write_b128 v172, v[208:211] offset:29568
	ds_write_b128 v172, v[22:25] offset:5376
	ds_write_b128 v172, v[18:21] offset:11648
	ds_write_b128 v172, v[204:207] offset:17920
	ds_write_b128 v172, v[200:203] offset:24192
	ds_write_b128 v172, v[212:215] offset:30464
	s_waitcnt lgkmcnt(0)
	; wave barrier
	s_waitcnt lgkmcnt(0)
	global_load_dwordx4 v[0:3], v178, s[8:9]
	ds_read_b128 v[4:7], v172
	ds_read_b128 v[20:23], v172 offset:1792
	v_lshl_add_u64 v[88:89], s[8:9], 0, v[178:179]
	v_add_co_u32_e64 v92, s[2:3], s20, v88
	ds_read_b128 v[84:87], v172 offset:5376
	s_nop 0
	v_addc_co_u32_e64 v93, s[2:3], 0, v89, s[2:3]
	s_movk_i32 s2, 0x3000
	s_nop 0
	v_add_co_u32_e64 v124, s[2:3], s2, v88
	ds_read_b128 v[12:15], v172 offset:16576
	s_nop 0
	v_addc_co_u32_e64 v125, s[2:3], 0, v89, s[2:3]
	s_movk_i32 s2, 0x5000
	s_nop 0
	;; [unrolled: 6-line block ×4, first 2 shown]
	v_add_co_u32_e64 v76, s[2:3], s2, v88
	ds_read_b128 v[24:27], v172 offset:9632
	s_nop 0
	v_addc_co_u32_e64 v77, s[2:3], 0, v89, s[2:3]
	ds_read_b128 v[28:31], v172 offset:17472
	ds_read_b128 v[44:47], v172 offset:18368
	s_movk_i32 s2, 0x6000
	v_add_co_u32_e64 v80, s[2:3], s2, v88
	ds_read_b128 v[32:35], v172 offset:25312
	ds_read_b128 v[48:51], v172 offset:26208
	v_addc_co_u32_e64 v81, s[2:3], 0, v89, s[2:3]
	ds_read_b128 v[40:43], v172 offset:10528
	ds_read_b128 v[72:75], v172 offset:12320
	;; [unrolled: 1-line block ×7, first 2 shown]
	s_movk_i32 s2, 0x7000
	v_add_co_u32_e64 v126, s[2:3], s2, v88
	ds_read_b128 v[94:97], v172 offset:13216
	s_nop 0
	v_addc_co_u32_e64 v127, s[2:3], 0, v89, s[2:3]
	ds_read_b128 v[108:111], v172 offset:21952
	ds_read_b128 v[104:107], v172 offset:14112
	s_waitcnt vmcnt(0) lgkmcnt(14)
	v_mul_f64 v[8:9], v[6:7], v[2:3]
	v_mul_f64 v[210:211], v[4:5], v[2:3]
	v_fma_f64 v[208:209], v[4:5], v[0:1], -v[8:9]
	v_fmac_f64_e32 v[210:211], v[6:7], v[0:1]
	global_load_dwordx4 v[0:3], v[92:93], off offset:3744
	ds_read_b128 v[4:7], v172 offset:7840
	s_waitcnt vmcnt(0) lgkmcnt(0)
	v_mul_f64 v[8:9], v[6:7], v[2:3]
	v_mul_f64 v[218:219], v[4:5], v[2:3]
	v_fma_f64 v[216:217], v[4:5], v[0:1], -v[8:9]
	v_fmac_f64_e32 v[218:219], v[6:7], v[0:1]
	global_load_dwordx4 v[0:3], v[124:125], off offset:3392
	ds_read_b128 v[4:7], v172 offset:15680
	s_waitcnt vmcnt(0) lgkmcnt(0)
	v_mul_f64 v[8:9], v[6:7], v[2:3]
	v_mul_f64 v[222:223], v[4:5], v[2:3]
	v_fma_f64 v[220:221], v[4:5], v[0:1], -v[8:9]
	v_fmac_f64_e32 v[222:223], v[6:7], v[0:1]
	global_load_dwordx4 v[0:3], v[182:183], off offset:3040
	ds_read_b128 v[4:7], v172 offset:23520
	s_waitcnt vmcnt(0) lgkmcnt(0)
	v_mul_f64 v[8:9], v[6:7], v[2:3]
	v_mul_f64 v[250:251], v[4:5], v[2:3]
	v_fma_f64 v[248:249], v[4:5], v[0:1], -v[8:9]
	v_fmac_f64_e32 v[250:251], v[6:7], v[0:1]
	global_load_dwordx4 v[0:3], v178, s[8:9] offset:896
	ds_read_b128 v[4:7], v172 offset:896
	s_waitcnt vmcnt(0) lgkmcnt(0)
	v_mul_f64 v[8:9], v[6:7], v[2:3]
	v_mul_f64 v[254:255], v[4:5], v[2:3]
	v_fma_f64 v[252:253], v[4:5], v[0:1], -v[8:9]
	v_fmac_f64_e32 v[254:255], v[6:7], v[0:1]
	global_load_dwordx4 v[4:7], v[56:57], off offset:544
	ds_read_b128 v[8:11], v172 offset:8736
	s_waitcnt vmcnt(0) lgkmcnt(0)
	v_mul_f64 v[0:1], v[10:11], v[6:7]
	v_mul_f64 v[2:3], v[8:9], v[6:7]
	v_fma_f64 v[0:1], v[8:9], v[4:5], -v[0:1]
	v_fmac_f64_e32 v[2:3], v[10:11], v[4:5]
	global_load_dwordx4 v[8:11], v[76:77], off offset:192
	s_waitcnt vmcnt(0)
	v_mul_f64 v[4:5], v[14:15], v[10:11]
	v_mul_f64 v[6:7], v[12:13], v[10:11]
	v_fma_f64 v[4:5], v[12:13], v[8:9], -v[4:5]
	v_fmac_f64_e32 v[6:7], v[14:15], v[8:9]
	global_load_dwordx4 v[12:15], v[182:183], off offset:3936
	s_waitcnt vmcnt(0)
	v_mul_f64 v[8:9], v[18:19], v[14:15]
	v_mul_f64 v[10:11], v[16:17], v[14:15]
	v_fma_f64 v[8:9], v[16:17], v[12:13], -v[8:9]
	v_fmac_f64_e32 v[10:11], v[18:19], v[12:13]
	global_load_dwordx4 v[16:19], v178, s[8:9] offset:1792
	s_waitcnt vmcnt(0)
	v_mul_f64 v[12:13], v[22:23], v[18:19]
	v_mul_f64 v[14:15], v[20:21], v[18:19]
	v_fma_f64 v[12:13], v[20:21], v[16:17], -v[12:13]
	v_fmac_f64_e32 v[14:15], v[22:23], v[16:17]
	global_load_dwordx4 v[20:23], v[56:57], off offset:1440
	s_waitcnt vmcnt(0)
	v_mul_f64 v[16:17], v[26:27], v[22:23]
	v_mul_f64 v[18:19], v[24:25], v[22:23]
	v_fma_f64 v[16:17], v[24:25], v[20:21], -v[16:17]
	v_fmac_f64_e32 v[18:19], v[26:27], v[20:21]
	global_load_dwordx4 v[24:27], v[76:77], off offset:1088
	;; [unrolled: 6-line block ×3, first 2 shown]
	s_waitcnt vmcnt(0)
	v_mul_f64 v[24:25], v[34:35], v[30:31]
	v_mul_f64 v[26:27], v[32:33], v[30:31]
	v_fma_f64 v[24:25], v[32:33], v[28:29], -v[24:25]
	v_fmac_f64_e32 v[26:27], v[34:35], v[28:29]
	global_load_dwordx4 v[32:35], v178, s[8:9] offset:2688
	s_waitcnt vmcnt(0)
	v_mul_f64 v[28:29], v[38:39], v[34:35]
	v_mul_f64 v[30:31], v[36:37], v[34:35]
	v_fma_f64 v[28:29], v[36:37], v[32:33], -v[28:29]
	v_fmac_f64_e32 v[30:31], v[38:39], v[32:33]
	global_load_dwordx4 v[36:39], v[56:57], off offset:2336
	s_waitcnt vmcnt(0)
	v_mul_f64 v[32:33], v[42:43], v[38:39]
	v_mul_f64 v[34:35], v[40:41], v[38:39]
	v_fma_f64 v[32:33], v[40:41], v[36:37], -v[32:33]
	v_fmac_f64_e32 v[34:35], v[42:43], v[36:37]
	global_load_dwordx4 v[40:43], v[76:77], off offset:1984
	s_waitcnt vmcnt(0)
	v_mul_f64 v[36:37], v[46:47], v[42:43]
	v_mul_f64 v[38:39], v[44:45], v[42:43]
	v_fma_f64 v[36:37], v[44:45], v[40:41], -v[36:37]
	v_fmac_f64_e32 v[38:39], v[46:47], v[40:41]
	global_load_dwordx4 v[44:47], v[80:81], off offset:1632
	s_waitcnt vmcnt(0)
	v_mul_f64 v[40:41], v[50:51], v[46:47]
	v_mul_f64 v[42:43], v[48:49], v[46:47]
	v_fma_f64 v[40:41], v[48:49], v[44:45], -v[40:41]
	v_fmac_f64_e32 v[42:43], v[50:51], v[44:45]
	global_load_dwordx4 v[48:51], v178, s[8:9] offset:3584
	s_waitcnt vmcnt(0)
	v_mul_f64 v[44:45], v[54:55], v[50:51]
	v_mul_f64 v[46:47], v[52:53], v[50:51]
	v_fma_f64 v[44:45], v[52:53], v[48:49], -v[44:45]
	v_fmac_f64_e32 v[46:47], v[54:55], v[48:49]
	global_load_dwordx4 v[52:55], v[56:57], off offset:3232
	ds_read_b128 v[56:59], v172 offset:11424
	s_waitcnt vmcnt(0) lgkmcnt(0)
	v_mul_f64 v[48:49], v[58:59], v[54:55]
	v_mul_f64 v[50:51], v[56:57], v[54:55]
	v_fma_f64 v[48:49], v[56:57], v[52:53], -v[48:49]
	v_fmac_f64_e32 v[50:51], v[58:59], v[52:53]
	global_load_dwordx4 v[56:59], v[76:77], off offset:2880
	s_waitcnt vmcnt(0)
	v_mul_f64 v[52:53], v[62:63], v[58:59]
	v_mul_f64 v[54:55], v[60:61], v[58:59]
	v_fma_f64 v[52:53], v[60:61], v[56:57], -v[52:53]
	v_fmac_f64_e32 v[54:55], v[62:63], v[56:57]
	global_load_dwordx4 v[60:63], v[80:81], off offset:2528
	s_waitcnt vmcnt(0)
	;; [unrolled: 6-line block ×4, first 2 shown]
	v_mul_f64 v[64:65], v[74:75], v[70:71]
	v_mul_f64 v[66:67], v[72:73], v[70:71]
	v_fma_f64 v[64:65], v[72:73], v[68:69], -v[64:65]
	v_fmac_f64_e32 v[66:67], v[74:75], v[68:69]
	global_load_dwordx4 v[72:75], v[76:77], off offset:3776
	ds_read_b128 v[76:79], v172 offset:20160
	s_waitcnt vmcnt(0) lgkmcnt(0)
	v_mul_f64 v[68:69], v[78:79], v[74:75]
	v_mul_f64 v[70:71], v[76:77], v[74:75]
	v_fma_f64 v[68:69], v[76:77], v[72:73], -v[68:69]
	v_fmac_f64_e32 v[70:71], v[78:79], v[72:73]
	global_load_dwordx4 v[76:79], v[80:81], off offset:3424
	ds_read_b128 v[80:83], v172 offset:28000
	s_waitcnt vmcnt(0) lgkmcnt(0)
	v_mul_f64 v[72:73], v[82:83], v[78:79]
	v_mul_f64 v[74:75], v[80:81], v[78:79]
	v_fma_f64 v[72:73], v[80:81], v[76:77], -v[72:73]
	v_fmac_f64_e32 v[74:75], v[82:83], v[76:77]
	global_load_dwordx4 v[80:83], v[92:93], off offset:1280
	s_waitcnt vmcnt(0)
	v_mul_f64 v[76:77], v[86:87], v[82:83]
	v_mul_f64 v[78:79], v[84:85], v[82:83]
	v_fma_f64 v[76:77], v[84:85], v[80:81], -v[76:77]
	v_fmac_f64_e32 v[78:79], v[86:87], v[80:81]
	global_load_dwordx4 v[84:87], v[124:125], off offset:928
	s_waitcnt vmcnt(0)
	;; [unrolled: 6-line block ×3, first 2 shown]
	v_mul_f64 v[84:85], v[100:101], v[96:97]
	v_mul_f64 v[86:87], v[98:99], v[96:97]
	v_fma_f64 v[84:85], v[98:99], v[94:95], -v[84:85]
	v_fmac_f64_e32 v[86:87], v[100:101], v[94:95]
	global_load_dwordx4 v[94:97], v[126:127], off offset:224
	ds_read_b128 v[98:101], v172 offset:28896
	s_waitcnt vmcnt(0) lgkmcnt(0)
	v_mul_f64 v[88:89], v[100:101], v[96:97]
	v_fma_f64 v[88:89], v[98:99], v[94:95], -v[88:89]
	v_mul_f64 v[90:91], v[98:99], v[96:97]
	global_load_dwordx4 v[96:99], v[92:93], off offset:2176
	v_fmac_f64_e32 v[90:91], v[100:101], v[94:95]
	ds_read_b128 v[100:103], v172 offset:6272
	s_waitcnt vmcnt(0) lgkmcnt(0)
	v_mul_f64 v[92:93], v[102:103], v[98:99]
	v_mul_f64 v[94:95], v[100:101], v[98:99]
	v_fma_f64 v[92:93], v[100:101], v[96:97], -v[92:93]
	v_fmac_f64_e32 v[94:95], v[102:103], v[96:97]
	global_load_dwordx4 v[100:103], v[124:125], off offset:1824
	s_waitcnt vmcnt(0)
	v_mul_f64 v[96:97], v[106:107], v[102:103]
	v_mul_f64 v[98:99], v[104:105], v[102:103]
	v_fma_f64 v[96:97], v[104:105], v[100:101], -v[96:97]
	v_fmac_f64_e32 v[98:99], v[106:107], v[100:101]
	global_load_dwordx4 v[104:107], v[182:183], off offset:1472
	s_waitcnt vmcnt(0)
	v_mul_f64 v[100:101], v[110:111], v[106:107]
	v_mul_f64 v[102:103], v[108:109], v[106:107]
	v_fma_f64 v[100:101], v[108:109], v[104:105], -v[100:101]
	v_fmac_f64_e32 v[102:103], v[110:111], v[104:105]
	global_load_dwordx4 v[104:107], v[126:127], off offset:1120
	ds_read_b128 v[108:111], v172 offset:29792
	s_waitcnt vmcnt(0) lgkmcnt(0)
	v_mul_f64 v[152:153], v[110:111], v[106:107]
	v_mul_f64 v[154:155], v[108:109], v[106:107]
	v_fma_f64 v[152:153], v[108:109], v[104:105], -v[152:153]
	v_fmac_f64_e32 v[154:155], v[110:111], v[104:105]
	ds_write_b128 v172, v[208:211]
	ds_write_b128 v172, v[216:219] offset:7840
	ds_write_b128 v172, v[220:223] offset:15680
	;; [unrolled: 1-line block ×31, first 2 shown]
	s_and_saveexec_b64 s[2:3], vcc
	s_cbranch_execz .LBB0_13
; %bb.12:
	scratch_load_dword v4, off, off offset:8 ; 4-byte Folded Reload
	ds_read_b128 v[0:3], v172 offset:7168
	s_waitcnt vmcnt(0)
	global_load_dwordx4 v[4:7], v4, s[8:9]
	s_waitcnt vmcnt(0) lgkmcnt(0)
	v_mul_f64 v[8:9], v[2:3], v[6:7]
	v_mul_f64 v[10:11], v[0:1], v[6:7]
	v_fma_f64 v[8:9], v[0:1], v[4:5], -v[8:9]
	v_fmac_f64_e32 v[10:11], v[2:3], v[4:5]
	global_load_dwordx4 v[4:7], v[124:125], off offset:2720
	ds_read_b128 v[0:3], v172 offset:15008
	ds_write_b128 v172, v[8:11] offset:7168
	s_waitcnt vmcnt(0) lgkmcnt(1)
	v_mul_f64 v[8:9], v[2:3], v[6:7]
	v_mul_f64 v[10:11], v[0:1], v[6:7]
	v_fma_f64 v[8:9], v[0:1], v[4:5], -v[8:9]
	v_fmac_f64_e32 v[10:11], v[2:3], v[4:5]
	global_load_dwordx4 v[4:7], v[182:183], off offset:2368
	ds_read_b128 v[0:3], v172 offset:22848
	ds_write_b128 v172, v[8:11] offset:15008
	;; [unrolled: 8-line block ×3, first 2 shown]
	s_waitcnt vmcnt(0) lgkmcnt(1)
	v_mul_f64 v[8:9], v[2:3], v[6:7]
	v_mul_f64 v[10:11], v[0:1], v[6:7]
	v_fma_f64 v[8:9], v[0:1], v[4:5], -v[8:9]
	v_fmac_f64_e32 v[10:11], v[2:3], v[4:5]
	ds_write_b128 v172, v[8:11] offset:30688
.LBB0_13:
	s_or_b64 exec, exec, s[2:3]
	s_waitcnt lgkmcnt(0)
	; wave barrier
	s_waitcnt lgkmcnt(0)
	ds_read_b128 v[216:219], v172
	ds_read_b128 v[100:103], v172 offset:896
	ds_read_b128 v[220:223], v172 offset:7840
	;; [unrolled: 1-line block ×31, first 2 shown]
	s_and_saveexec_b64 s[2:3], vcc
	s_cbranch_execz .LBB0_15
; %bb.14:
	ds_read_b128 v[204:207], v172 offset:7168
	ds_read_b128 v[200:203], v172 offset:15008
	;; [unrolled: 1-line block ×4, first 2 shown]
.LBB0_15:
	s_or_b64 exec, exec, s[2:3]
	s_waitcnt lgkmcnt(0)
	; wave barrier
	s_waitcnt lgkmcnt(0)
	scratch_load_dwordx2 v[128:129], off, off ; 8-byte Folded Reload
	v_add_f64 v[124:125], v[216:217], -v[252:253]
	v_add_f64 v[152:153], v[220:221], -v[248:249]
	v_fma_f64 v[108:109], v[216:217], 2.0, -v[124:125]
	v_add_f64 v[154:155], v[222:223], -v[250:251]
	v_fma_f64 v[156:157], v[220:221], 2.0, -v[152:153]
	v_fma_f64 v[158:159], v[222:223], 2.0, -v[154:155]
	v_add_f64 v[216:217], v[108:109], -v[156:157]
	v_add_f64 v[220:221], v[124:125], v[154:155]
	v_add_f64 v[154:155], v[102:103], -v[210:211]
	v_add_f64 v[156:157], v[96:97], -v[104:105]
	;; [unrolled: 1-line block ×5, first 2 shown]
	v_fma_f64 v[96:97], v[96:97], 2.0, -v[156:157]
	v_add_f64 v[106:107], v[154:155], -v[156:157]
	v_fma_f64 v[156:157], v[80:81], 2.0, -v[92:93]
	v_fma_f64 v[80:81], v[84:85], 2.0, -v[178:179]
	v_add_f64 v[94:95], v[82:83], -v[94:95]
	v_add_f64 v[80:81], v[156:157], -v[80:81]
	;; [unrolled: 1-line block ×3, first 2 shown]
	v_fma_f64 v[84:85], v[156:157], 2.0, -v[80:81]
	v_add_f64 v[90:91], v[94:95], -v[178:179]
	v_add_f64 v[78:79], v[70:71], -v[78:79]
	;; [unrolled: 1-line block ×6, first 2 shown]
	v_fma_f64 v[64:65], v[64:65], 2.0, -v[156:157]
	v_add_f64 v[74:75], v[78:79], -v[156:157]
	v_fma_f64 v[156:157], v[48:49], 2.0, -v[60:61]
	v_fma_f64 v[48:49], v[52:53], 2.0, -v[178:179]
	v_add_f64 v[62:63], v[50:51], -v[62:63]
	v_add_f64 v[48:49], v[156:157], -v[48:49]
	;; [unrolled: 1-line block ×3, first 2 shown]
	v_fma_f64 v[52:53], v[156:157], 2.0, -v[48:49]
	v_add_f64 v[58:59], v[62:63], -v[178:179]
	v_add_f64 v[46:47], v[38:39], -v[46:47]
	v_add_f64 v[156:157], v[32:33], -v[40:41]
	v_add_f64 v[28:29], v[16:17], -v[28:29]
	v_add_f64 v[178:179], v[20:21], -v[24:25]
	v_add_f64 v[40:41], v[34:35], -v[42:43]
	v_fma_f64 v[32:33], v[32:33], 2.0, -v[156:157]
	v_add_f64 v[42:43], v[46:47], -v[156:157]
	v_fma_f64 v[156:157], v[16:17], 2.0, -v[28:29]
	v_fma_f64 v[16:17], v[20:21], 2.0, -v[178:179]
	v_add_f64 v[126:127], v[218:219], -v[254:255]
	v_add_f64 v[16:17], v[156:157], -v[16:17]
	v_fma_f64 v[110:111], v[218:219], 2.0, -v[126:127]
	v_fma_f64 v[20:21], v[156:157], 2.0, -v[16:17]
	v_add_f64 v[156:157], v[4:5], -v[12:13]
	v_add_f64 v[182:183], v[2:3], -v[10:11]
	;; [unrolled: 1-line block ×3, first 2 shown]
	v_add_f64 v[248:249], v[156:157], v[182:183]
	v_fma_f64 v[108:109], v[108:109], 2.0, -v[216:217]
	v_fma_f64 v[110:111], v[110:111], 2.0, -v[218:219]
	v_add_f64 v[222:223], v[126:127], -v[152:153]
	v_fma_f64 v[4:5], v[4:5], 2.0, -v[156:157]
	v_fma_f64 v[252:253], v[156:157], 2.0, -v[248:249]
	;; [unrolled: 1-line block ×4, first 2 shown]
	v_add_f64 v[152:153], v[100:101], -v[208:209]
	v_fma_f64 v[100:101], v[100:101], 2.0, -v[152:153]
	v_fma_f64 v[102:103], v[102:103], 2.0, -v[154:155]
	;; [unrolled: 1-line block ×3, first 2 shown]
	v_add_f64 v[96:97], v[100:101], -v[96:97]
	v_add_f64 v[98:99], v[102:103], -v[98:99]
	v_fma_f64 v[100:101], v[100:101], 2.0, -v[96:97]
	v_fma_f64 v[102:103], v[102:103], 2.0, -v[98:99]
	v_add_f64 v[104:105], v[152:153], v[104:105]
	v_fma_f64 v[152:153], v[152:153], 2.0, -v[104:105]
	v_fma_f64 v[154:155], v[154:155], 2.0, -v[106:107]
	;; [unrolled: 1-line block ×4, first 2 shown]
	v_add_f64 v[82:83], v[158:159], -v[82:83]
	v_fma_f64 v[86:87], v[158:159], 2.0, -v[82:83]
	v_add_f64 v[88:89], v[92:93], v[88:89]
	v_fma_f64 v[92:93], v[92:93], 2.0, -v[88:89]
	v_fma_f64 v[94:95], v[94:95], 2.0, -v[90:91]
	v_add_f64 v[76:77], v[68:69], -v[76:77]
	s_waitcnt vmcnt(0)
	v_lshlrev_b32_e32 v156, 6, v128
	ds_write_b128 v156, v[108:111]
	ds_write_b128 v156, v[124:127] offset:16
	ds_write_b128 v156, v[216:219] offset:32
	;; [unrolled: 1-line block ×3, first 2 shown]
	scratch_load_dword v108, off, off offset:16 ; 4-byte Folded Reload
	v_fma_f64 v[68:69], v[68:69], 2.0, -v[76:77]
	v_fma_f64 v[70:71], v[70:71], 2.0, -v[78:79]
	;; [unrolled: 1-line block ×3, first 2 shown]
	v_add_f64 v[64:65], v[68:69], -v[64:65]
	v_add_f64 v[66:67], v[70:71], -v[66:67]
	v_fma_f64 v[158:159], v[50:51], 2.0, -v[62:63]
	v_fma_f64 v[50:51], v[54:55], 2.0, -v[56:57]
	;; [unrolled: 1-line block ×4, first 2 shown]
	v_add_f64 v[72:73], v[76:77], v[72:73]
	v_add_f64 v[50:51], v[158:159], -v[50:51]
	v_add_f64 v[56:57], v[60:61], v[56:57]
	v_fma_f64 v[76:77], v[76:77], 2.0, -v[72:73]
	v_fma_f64 v[78:79], v[78:79], 2.0, -v[74:75]
	v_fma_f64 v[54:55], v[158:159], 2.0, -v[50:51]
	v_fma_f64 v[60:61], v[60:61], 2.0, -v[56:57]
	v_fma_f64 v[62:63], v[62:63], 2.0, -v[58:59]
	v_add_f64 v[44:45], v[36:37], -v[44:45]
	v_fma_f64 v[36:37], v[36:37], 2.0, -v[44:45]
	v_fma_f64 v[38:39], v[38:39], 2.0, -v[46:47]
	;; [unrolled: 1-line block ×3, first 2 shown]
	v_add_f64 v[30:31], v[18:19], -v[30:31]
	v_add_f64 v[24:25], v[22:23], -v[26:27]
	v_add_f64 v[32:33], v[36:37], -v[32:33]
	v_add_f64 v[34:35], v[38:39], -v[34:35]
	v_fma_f64 v[158:159], v[18:19], 2.0, -v[30:31]
	v_fma_f64 v[18:19], v[22:23], 2.0, -v[24:25]
	;; [unrolled: 1-line block ×4, first 2 shown]
	v_add_f64 v[40:41], v[44:45], v[40:41]
	v_add_f64 v[18:19], v[158:159], -v[18:19]
	v_add_f64 v[24:25], v[28:29], v[24:25]
	v_add_f64 v[26:27], v[30:31], -v[178:179]
	v_fma_f64 v[44:45], v[44:45], 2.0, -v[40:41]
	v_fma_f64 v[46:47], v[46:47], 2.0, -v[42:43]
	;; [unrolled: 1-line block ×5, first 2 shown]
	v_add_f64 v[158:159], v[6:7], -v[14:15]
	v_add_f64 v[178:179], v[0:1], -v[8:9]
	v_fma_f64 v[6:7], v[6:7], 2.0, -v[158:159]
	v_fma_f64 v[0:1], v[0:1], 2.0, -v[178:179]
	;; [unrolled: 1-line block ×3, first 2 shown]
	v_accvgpr_read_b32 v135, a21
	v_add_f64 v[8:9], v[4:5], -v[0:1]
	v_add_f64 v[10:11], v[6:7], -v[2:3]
	v_accvgpr_read_b32 v134, a20
	v_accvgpr_read_b32 v133, a19
	;; [unrolled: 1-line block ×3, first 2 shown]
	v_fma_f64 v[12:13], v[4:5], 2.0, -v[8:9]
	v_fma_f64 v[14:15], v[6:7], 2.0, -v[10:11]
	v_add_f64 v[0:1], v[204:205], -v[212:213]
	v_add_f64 v[4:5], v[206:207], -v[214:215]
	;; [unrolled: 1-line block ×5, first 2 shown]
	v_add_f64 v[208:209], v[0:1], v[6:7]
	v_add_f64 v[210:211], v[4:5], -v[2:3]
	v_fma_f64 v[254:255], v[158:159], 2.0, -v[250:251]
	s_waitcnt vmcnt(0)
	ds_write_b128 v108, v[100:103]
	ds_write_b128 v108, v[152:155] offset:16
	ds_write_b128 v108, v[96:99] offset:32
	;; [unrolled: 1-line block ×3, first 2 shown]
	scratch_load_dword v96, off, off offset:20 ; 4-byte Folded Reload
	s_waitcnt vmcnt(0)
	ds_write_b128 v96, v[84:87]
	ds_write_b128 v96, v[92:95] offset:16
	ds_write_b128 v96, v[80:83] offset:32
	ds_write_b128 v96, v[88:91] offset:48
	scratch_load_dword v80, off, off offset:24 ; 4-byte Folded Reload
	s_waitcnt vmcnt(0)
	ds_write_b128 v80, v[68:71]
	ds_write_b128 v80, v[76:79] offset:16
	ds_write_b128 v80, v[64:67] offset:32
	ds_write_b128 v80, v[72:75] offset:48
	ds_write_b128 v160, v[52:55]
	ds_write_b128 v160, v[60:63] offset:16
	ds_write_b128 v160, v[48:51] offset:32
	ds_write_b128 v160, v[56:59] offset:48
	scratch_load_dword v48, off, off offset:28 ; 4-byte Folded Reload
	s_waitcnt vmcnt(0)
	ds_write_b128 v48, v[36:39]
	ds_write_b128 v48, v[44:47] offset:16
	ds_write_b128 v48, v[32:35] offset:32
	ds_write_b128 v48, v[40:43] offset:48
	;; [unrolled: 10-line block ×3, first 2 shown]
	s_and_saveexec_b64 s[2:3], vcc
	s_cbranch_execz .LBB0_17
; %bb.16:
	v_fma_f64 v[10:11], v[4:5], 2.0, -v[210:211]
	v_fma_f64 v[8:9], v[0:1], 2.0, -v[208:209]
	;; [unrolled: 1-line block ×6, first 2 shown]
	v_add_f64 v[4:5], v[12:13], -v[4:5]
	v_add_f64 v[2:3], v[0:1], -v[2:3]
	v_fma_f64 v[14:15], v[12:13], 2.0, -v[4:5]
	v_fma_f64 v[12:13], v[0:1], 2.0, -v[2:3]
	scratch_load_dword v0, off, off offset:12 ; 4-byte Folded Reload
	s_waitcnt vmcnt(0)
	ds_write_b128 v0, v[12:15]
	ds_write_b128 v0, v[8:11] offset:16
	ds_write_b128 v0, v[2:5] offset:32
	;; [unrolled: 1-line block ×3, first 2 shown]
.LBB0_17:
	s_or_b64 exec, exec, s[2:3]
	v_accvgpr_read_b32 v132, a208
	s_waitcnt lgkmcnt(0)
	; wave barrier
	s_waitcnt lgkmcnt(0)
	ds_read_b128 v[16:19], v172
	ds_read_b128 v[12:15], v172 offset:896
	ds_read_b128 v[28:31], v172 offset:8960
	;; [unrolled: 1-line block ×34, first 2 shown]
	s_waitcnt lgkmcnt(12)
	v_mul_f64 v[48:49], v[146:147], v[54:55]
	v_accvgpr_read_b32 v134, a210
	v_accvgpr_read_b32 v135, a211
	v_fma_f64 v[160:161], v[144:145], v[56:57], -v[48:49]
	v_accvgpr_read_b32 v133, a209
	s_waitcnt lgkmcnt(8)
	v_mul_f64 v[48:49], v[134:135], v[62:63]
	v_accvgpr_read_b32 v136, a216
	v_fma_f64 v[164:165], v[132:133], v[64:65], -v[48:49]
	s_waitcnt lgkmcnt(4)
	v_mul_f64 v[48:49], v[150:151], v[70:71]
	v_mul_f64 v[170:171], v[142:143], v[42:43]
	v_accvgpr_read_b32 v138, a218
	v_accvgpr_read_b32 v139, a219
	v_fma_f64 v[168:169], v[148:149], v[72:73], -v[48:49]
	v_fmac_f64_e32 v[170:171], v[140:141], v[40:41]
	v_mul_f64 v[40:41], v[142:143], v[40:41]
	v_mul_f64 v[48:49], v[146:147], v[52:53]
	v_accvgpr_read_b32 v137, a217
	v_fma_f64 v[40:41], v[140:141], v[42:43], -v[40:41]
	v_fmac_f64_e32 v[48:49], v[144:145], v[50:51]
	v_mul_f64 v[42:43], v[146:147], v[50:51]
	v_mul_f64 v[50:51], v[138:139], v[22:23]
	;; [unrolled: 1-line block ×4, first 2 shown]
	v_accvgpr_read_b32 v128, a200
	v_fmac_f64_e32 v[50:51], v[136:137], v[20:21]
	v_mul_f64 v[20:21], v[138:139], v[20:21]
	v_fmac_f64_e32 v[206:207], v[144:145], v[54:55]
	v_fmac_f64_e32 v[162:163], v[136:137], v[28:29]
	v_mul_f64 v[28:29], v[138:139], v[28:29]
	v_accvgpr_read_b32 v130, a202
	v_accvgpr_read_b32 v131, a203
	v_fma_f64 v[54:55], v[144:145], v[52:53], -v[42:43]
	v_fma_f64 v[56:57], v[136:137], v[22:23], -v[20:21]
	v_mul_f64 v[52:53], v[134:135], v[60:61]
	v_mul_f64 v[20:21], v[134:135], v[58:59]
	v_fma_f64 v[28:29], v[136:137], v[30:31], -v[28:29]
	v_mul_f64 v[30:31], v[134:135], v[64:65]
	v_accvgpr_read_b32 v129, a201
	v_fmac_f64_e32 v[52:53], v[132:133], v[58:59]
	v_fma_f64 v[58:59], v[132:133], v[60:61], -v[20:21]
	v_mul_f64 v[20:21], v[130:131], v[24:25]
	v_fmac_f64_e32 v[30:31], v[132:133], v[62:63]
	v_fma_f64 v[62:63], v[128:129], v[26:27], -v[20:21]
	v_mul_f64 v[64:65], v[150:151], v[68:69]
	v_mul_f64 v[20:21], v[150:151], v[66:67]
	v_fmac_f64_e32 v[64:65], v[148:149], v[66:67]
	v_fma_f64 v[66:67], v[148:149], v[68:69], -v[20:21]
	v_mul_f64 v[20:21], v[142:143], v[32:33]
	v_mul_f64 v[166:167], v[130:131], v[38:39]
	v_fma_f64 v[204:205], v[140:141], v[34:35], -v[20:21]
	v_mul_f64 v[20:21], v[146:147], v[44:45]
	v_fmac_f64_e32 v[166:167], v[128:129], v[36:37]
	v_mul_f64 v[36:37], v[130:131], v[36:37]
	v_fma_f64 v[74:75], v[144:145], v[46:47], -v[20:21]
	v_mul_f64 v[20:21], v[138:139], v[82:83]
	v_fma_f64 v[36:37], v[128:129], v[38:39], -v[36:37]
	;; [unrolled: 2-line block ×3, first 2 shown]
	v_mul_f64 v[72:73], v[134:135], v[80:81]
	v_mul_f64 v[20:21], v[134:135], v[78:79]
	v_fmac_f64_e32 v[38:39], v[148:149], v[70:71]
	v_mul_f64 v[70:71], v[138:139], v[84:85]
	v_fmac_f64_e32 v[72:73], v[132:133], v[78:79]
	v_fma_f64 v[78:79], v[132:133], v[80:81], -v[20:21]
	v_mul_f64 v[20:21], v[130:131], v[90:91]
	v_fmac_f64_e32 v[70:71], v[136:137], v[82:83]
	v_fma_f64 v[82:83], v[128:129], v[92:93], -v[20:21]
	v_mul_f64 v[84:85], v[150:151], v[88:89]
	v_mul_f64 v[20:21], v[150:151], v[86:87]
	;; [unrolled: 1-line block ×3, first 2 shown]
	v_fmac_f64_e32 v[84:85], v[148:149], v[86:87]
	v_fma_f64 v[86:87], v[148:149], v[88:89], -v[20:21]
	v_mul_f64 v[20:21], v[142:143], v[94:95]
	v_fmac_f64_e32 v[80:81], v[128:129], v[90:91]
	v_mul_f64 v[88:89], v[142:143], v[96:97]
	v_fma_f64 v[90:91], v[140:141], v[96:97], -v[20:21]
	v_mul_f64 v[20:21], v[146:147], v[152:153]
	v_fmac_f64_e32 v[88:89], v[140:141], v[94:95]
	v_fma_f64 v[98:99], v[144:145], v[154:155], -v[20:21]
	v_mul_f64 v[94:95], v[138:139], v[102:103]
	v_mul_f64 v[20:21], v[138:139], v[100:101]
	v_fmac_f64_e32 v[94:95], v[136:137], v[100:101]
	v_fma_f64 v[100:101], v[136:137], v[102:103], -v[20:21]
	v_mul_f64 v[20:21], v[134:135], v[176:177]
	v_fma_f64 v[102:103], v[132:133], v[178:179], -v[20:21]
	v_mul_f64 v[104:105], v[130:131], v[108:109]
	v_mul_f64 v[20:21], v[130:131], v[106:107]
	;; [unrolled: 1-line block ×3, first 2 shown]
	v_fmac_f64_e32 v[104:105], v[128:129], v[106:107]
	v_fma_f64 v[106:107], v[128:129], v[108:109], -v[20:21]
	s_waitcnt lgkmcnt(2)
	v_mul_f64 v[178:179], v[150:151], v[182:183]
	v_mul_f64 v[20:21], v[150:151], v[180:181]
	v_fmac_f64_e32 v[178:179], v[148:149], v[180:181]
	v_fma_f64 v[180:181], v[148:149], v[182:183], -v[20:21]
	v_mul_f64 v[20:21], v[142:143], v[124:125]
	v_fma_f64 v[200:201], v[140:141], v[126:127], -v[20:21]
	v_mul_f64 v[20:21], v[146:147], v[212:213]
	v_mul_f64 v[182:183], v[142:143], v[126:127]
	v_fma_f64 v[126:127], v[144:145], v[214:215], -v[20:21]
	v_mul_f64 v[110:111], v[138:139], v[218:219]
	v_mul_f64 v[20:21], v[138:139], v[216:217]
	v_fmac_f64_e32 v[110:111], v[136:137], v[216:217]
	v_fma_f64 v[136:137], v[136:137], v[218:219], -v[20:21]
	v_mul_f64 v[20:21], v[134:135], v[220:221]
	v_fma_f64 v[138:139], v[132:133], v[222:223], -v[20:21]
	v_mul_f64 v[20:21], v[130:131], v[248:249]
	v_mul_f64 v[68:69], v[146:147], v[46:47]
	;; [unrolled: 1-line block ×3, first 2 shown]
	v_fmac_f64_e32 v[96:97], v[132:133], v[176:177]
	v_mul_f64 v[108:109], v[146:147], v[214:215]
	v_fma_f64 v[146:147], v[128:129], v[250:251], -v[20:21]
	s_waitcnt lgkmcnt(1)
	v_mul_f64 v[176:177], v[150:151], v[254:255]
	v_mul_f64 v[20:21], v[150:151], v[252:253]
	;; [unrolled: 1-line block ×3, first 2 shown]
	v_fmac_f64_e32 v[176:177], v[148:149], v[252:253]
	v_fma_f64 v[148:149], v[148:149], v[254:255], -v[20:21]
	s_waitcnt lgkmcnt(0)
	v_mul_f64 v[150:151], v[142:143], v[158:159]
	v_mul_f64 v[20:21], v[142:143], v[156:157]
	v_fmac_f64_e32 v[202:203], v[140:141], v[32:33]
	v_fmac_f64_e32 v[182:183], v[140:141], v[124:125]
	;; [unrolled: 1-line block ×3, first 2 shown]
	v_fma_f64 v[140:141], v[140:141], v[158:159], -v[20:21]
	v_add_f64 v[20:21], v[206:207], v[170:171]
	v_add_f64 v[32:33], v[162:163], v[38:39]
	v_mul_f64 v[60:61], v[130:131], v[26:27]
	v_fmac_f64_e32 v[68:69], v[144:145], v[44:45]
	v_fmac_f64_e32 v[92:93], v[144:145], v[152:153]
	;; [unrolled: 1-line block ×3, first 2 shown]
	v_mul_f64 v[144:145], v[130:131], v[250:251]
	v_add_f64 v[22:23], v[160:161], v[40:41]
	v_add_f64 v[26:27], v[160:161], -v[40:41]
	v_add_f64 v[34:35], v[28:29], v[168:169]
	v_add_f64 v[40:41], v[30:31], v[166:167]
	;; [unrolled: 1-line block ×3, first 2 shown]
	v_fmac_f64_e32 v[60:61], v[128:129], v[24:25]
	v_fmac_f64_e32 v[144:145], v[128:129], v[248:249]
	v_add_f64 v[42:43], v[164:165], v[36:37]
	v_add_f64 v[46:47], v[34:35], v[22:23]
	v_add_f64 v[128:129], v[32:33], -v[20:21]
	v_add_f64 v[20:21], v[20:21], -v[40:41]
	;; [unrolled: 1-line block ×3, first 2 shown]
	v_add_f64 v[40:41], v[40:41], v[44:45]
	v_mul_f64 v[124:125], v[134:135], v[222:223]
	v_add_f64 v[24:25], v[206:207], -v[170:171]
	v_add_f64 v[38:39], v[162:163], -v[38:39]
	;; [unrolled: 1-line block ×8, first 2 shown]
	v_add_f64 v[42:43], v[42:43], v[46:47]
	v_add_f64 v[16:17], v[16:17], v[40:41]
	s_mov_b32 s8, 0x37e14327
	s_mov_b32 s2, 0x36b3c0b5
	;; [unrolled: 1-line block ×5, first 2 shown]
	v_fmac_f64_e32 v[124:125], v[132:133], v[220:221]
	v_add_f64 v[132:133], v[30:31], v[38:39]
	v_add_f64 v[134:135], v[36:37], v[28:29]
	v_add_f64 v[142:143], v[30:31], -v[38:39]
	v_add_f64 v[152:153], v[36:37], -v[28:29]
	;; [unrolled: 1-line block ×3, first 2 shown]
	v_add_f64 v[18:19], v[18:19], v[42:43]
	s_mov_b32 s9, 0x3fe948f6
	s_mov_b32 s3, 0x3fac98ee
	;; [unrolled: 1-line block ×5, first 2 shown]
	v_mov_b64_e32 v[154:155], v[16:17]
	s_mov_b32 s20, 0x5476071b
	s_mov_b32 s24, 0xb247c609
	v_add_f64 v[30:31], v[24:25], -v[30:31]
	v_add_f64 v[36:37], v[26:27], -v[36:37]
	;; [unrolled: 1-line block ×3, first 2 shown]
	v_add_f64 v[24:25], v[132:133], v[24:25]
	v_add_f64 v[26:27], v[134:135], v[26:27]
	v_mul_f64 v[20:21], v[20:21], s[8:9]
	v_mul_f64 v[22:23], v[22:23], s[8:9]
	;; [unrolled: 1-line block ×7, first 2 shown]
	v_fmac_f64_e32 v[154:155], s[18:19], v[40:41]
	v_mov_b64_e32 v[40:41], v[18:19]
	s_mov_b32 s21, 0x3fe77f67
	s_mov_b32 s23, 0xbfe77f67
	;; [unrolled: 1-line block ×7, first 2 shown]
	v_mul_f64 v[152:153], v[28:29], s[12:13]
	v_fmac_f64_e32 v[40:41], s[18:19], v[42:43]
	v_fma_f64 v[42:43], v[128:129], s[20:21], -v[44:45]
	v_fma_f64 v[44:45], v[130:131], s[20:21], -v[46:47]
	;; [unrolled: 1-line block ×3, first 2 shown]
	v_fmac_f64_e32 v[20:21], s[2:3], v[32:33]
	v_fma_f64 v[32:33], v[130:131], s[22:23], -v[22:23]
	v_fmac_f64_e32 v[22:23], s[2:3], v[34:35]
	v_fma_f64 v[34:35], v[38:39], s[12:13], -v[132:133]
	v_fma_f64 v[38:39], v[28:29], s[12:13], -v[134:135]
	;; [unrolled: 1-line block ×3, first 2 shown]
	s_mov_b32 s27, 0xbfdc38aa
	v_fmac_f64_e32 v[134:135], s[24:25], v[36:37]
	v_fma_f64 v[36:37], v[36:37], s[28:29], -v[152:153]
	v_add_f64 v[142:143], v[22:23], v[40:41]
	v_add_f64 v[42:43], v[42:43], v[154:155]
	;; [unrolled: 1-line block ×4, first 2 shown]
	v_fmac_f64_e32 v[34:35], s[26:27], v[24:25]
	v_fmac_f64_e32 v[38:39], s[26:27], v[26:27]
	;; [unrolled: 1-line block ×4, first 2 shown]
	v_add_f64 v[130:131], v[20:21], v[154:155]
	v_add_f64 v[46:47], v[46:47], v[154:155]
	v_fmac_f64_e32 v[134:135], s[26:27], v[26:27]
	v_fmac_f64_e32 v[36:37], s[26:27], v[26:27]
	v_add_f64 v[26:27], v[40:41], -v[128:129]
	v_add_f64 v[28:29], v[42:43], -v[38:39]
	v_add_f64 v[30:31], v[34:35], v[44:45]
	v_add_f64 v[32:33], v[38:39], v[42:43]
	v_add_f64 v[34:35], v[44:45], -v[34:35]
	v_add_f64 v[38:39], v[128:129], v[40:41]
	v_add_f64 v[44:45], v[48:49], v[202:203]
	;; [unrolled: 1-line block ×3, first 2 shown]
	v_fmac_f64_e32 v[132:133], s[26:27], v[24:25]
	v_add_f64 v[20:21], v[134:135], v[130:131]
	v_add_f64 v[24:25], v[36:37], v[46:47]
	v_add_f64 v[36:37], v[46:47], -v[36:37]
	v_add_f64 v[40:41], v[130:131], -v[134:135]
	v_add_f64 v[46:47], v[54:55], v[204:205]
	v_add_f64 v[130:131], v[56:57], v[66:67]
	v_add_f64 v[50:51], v[50:51], -v[64:65]
	v_add_f64 v[64:65], v[52:53], v[60:61]
	v_add_f64 v[52:53], v[60:61], -v[52:53]
	;; [unrolled: 2-line block ×4, first 2 shown]
	v_add_f64 v[62:63], v[130:131], v[46:47]
	v_add_f64 v[60:61], v[64:65], v[60:61]
	;; [unrolled: 1-line block ×4, first 2 shown]
	v_add_f64 v[22:23], v[142:143], -v[132:133]
	v_add_f64 v[42:43], v[132:133], v[142:143]
	v_add_f64 v[48:49], v[48:49], -v[202:203]
	v_add_f64 v[54:55], v[54:55], -v[204:205]
	;; [unrolled: 1-line block ×8, first 2 shown]
	v_add_f64 v[142:143], v[52:53], v[50:51]
	v_add_f64 v[152:153], v[58:59], v[56:57]
	v_add_f64 v[154:155], v[52:53], -v[50:51]
	v_add_f64 v[156:157], v[58:59], -v[56:57]
	v_add_f64 v[14:15], v[14:15], v[62:63]
	v_mov_b64_e32 v[158:159], v[12:13]
	v_add_f64 v[52:53], v[48:49], -v[52:53]
	v_add_f64 v[58:59], v[54:55], -v[58:59]
	;; [unrolled: 1-line block ×4, first 2 shown]
	v_add_f64 v[48:49], v[142:143], v[48:49]
	v_add_f64 v[54:55], v[152:153], v[54:55]
	v_mul_f64 v[44:45], v[44:45], s[8:9]
	v_mul_f64 v[46:47], v[46:47], s[8:9]
	;; [unrolled: 1-line block ×6, first 2 shown]
	v_fmac_f64_e32 v[158:159], s[18:19], v[60:61]
	v_mov_b64_e32 v[60:61], v[14:15]
	v_mul_f64 v[156:157], v[56:57], s[12:13]
	v_fmac_f64_e32 v[60:61], s[18:19], v[62:63]
	v_fma_f64 v[62:63], v[132:133], s[20:21], -v[64:65]
	v_fma_f64 v[64:65], v[134:135], s[20:21], -v[66:67]
	;; [unrolled: 1-line block ×3, first 2 shown]
	v_fmac_f64_e32 v[44:45], s[2:3], v[128:129]
	v_fma_f64 v[128:129], v[134:135], s[22:23], -v[46:47]
	v_fmac_f64_e32 v[46:47], s[2:3], v[130:131]
	v_fma_f64 v[130:131], v[50:51], s[12:13], -v[142:143]
	v_fma_f64 v[56:57], v[56:57], s[12:13], -v[152:153]
	v_mul_f64 v[154:155], v[50:51], s[12:13]
	v_fmac_f64_e32 v[152:153], s[24:25], v[58:59]
	v_fma_f64 v[134:135], v[58:59], s[28:29], -v[156:157]
	v_add_f64 v[58:59], v[62:63], v[158:159]
	v_add_f64 v[62:63], v[64:65], v[60:61]
	;; [unrolled: 1-line block ×4, first 2 shown]
	v_fmac_f64_e32 v[130:131], s[26:27], v[48:49]
	v_fmac_f64_e32 v[56:57], s[26:27], v[54:55]
	v_add_f64 v[128:129], v[68:69], v[88:89]
	v_add_f64 v[68:69], v[68:69], -v[88:89]
	v_add_f64 v[88:89], v[70:71], v[84:85]
	v_fmac_f64_e32 v[142:143], s[24:25], v[52:53]
	v_fma_f64 v[132:133], v[52:53], s[28:29], -v[154:155]
	v_fmac_f64_e32 v[152:153], s[26:27], v[54:55]
	v_fmac_f64_e32 v[134:135], s[26:27], v[54:55]
	v_add_f64 v[52:53], v[58:59], -v[56:57]
	v_add_f64 v[54:55], v[130:131], v[62:63]
	v_add_f64 v[56:57], v[56:57], v[58:59]
	v_add_f64 v[58:59], v[62:63], -v[130:131]
	v_add_f64 v[130:131], v[74:75], v[90:91]
	v_add_f64 v[74:75], v[74:75], -v[90:91]
	;; [unrolled: 2-line block ×6, first 2 shown]
	v_add_f64 v[82:83], v[90:91], v[130:131]
	v_add_f64 v[80:81], v[84:85], v[80:81]
	;; [unrolled: 1-line block ×4, first 2 shown]
	v_fmac_f64_e32 v[142:143], s[26:27], v[48:49]
	v_fmac_f64_e32 v[132:133], s[26:27], v[48:49]
	v_add_f64 v[82:83], v[86:87], v[82:83]
	v_add_f64 v[8:9], v[8:9], v[80:81]
	;; [unrolled: 1-line block ×3, first 2 shown]
	v_add_f64 v[46:47], v[156:157], -v[142:143]
	v_add_f64 v[48:49], v[134:135], v[64:65]
	v_add_f64 v[50:51], v[66:67], -v[132:133]
	v_add_f64 v[60:61], v[64:65], -v[134:135]
	v_add_f64 v[62:63], v[132:133], v[66:67]
	v_add_f64 v[64:65], v[154:155], -v[152:153]
	v_add_f64 v[66:67], v[142:143], v[156:157]
	v_add_f64 v[132:133], v[88:89], -v[128:129]
	v_add_f64 v[134:135], v[90:91], -v[130:131]
	;; [unrolled: 1-line block ×6, first 2 shown]
	v_add_f64 v[152:153], v[78:79], v[76:77]
	v_add_f64 v[156:157], v[78:79], -v[76:77]
	v_add_f64 v[10:11], v[10:11], v[82:83]
	v_mov_b64_e32 v[158:159], v[8:9]
	v_add_f64 v[142:143], v[72:73], v[70:71]
	v_add_f64 v[154:155], v[72:73], -v[70:71]
	v_add_f64 v[78:79], v[74:75], -v[78:79]
	;; [unrolled: 1-line block ×4, first 2 shown]
	v_add_f64 v[74:75], v[152:153], v[74:75]
	v_mul_f64 v[84:85], v[128:129], s[8:9]
	v_mul_f64 v[86:87], v[130:131], s[8:9]
	;; [unrolled: 1-line block ×5, first 2 shown]
	v_fmac_f64_e32 v[158:159], s[18:19], v[80:81]
	v_mov_b64_e32 v[80:81], v[10:11]
	v_add_f64 v[72:73], v[68:69], -v[72:73]
	v_add_f64 v[68:69], v[142:143], v[68:69]
	v_mul_f64 v[142:143], v[154:155], s[14:15]
	v_mul_f64 v[154:155], v[70:71], s[12:13]
	v_mul_f64 v[156:157], v[76:77], s[12:13]
	v_fmac_f64_e32 v[80:81], s[18:19], v[82:83]
	v_fma_f64 v[82:83], v[132:133], s[20:21], -v[128:129]
	v_fma_f64 v[128:129], v[134:135], s[20:21], -v[130:131]
	;; [unrolled: 1-line block ×4, first 2 shown]
	v_fmac_f64_e32 v[84:85], s[2:3], v[88:89]
	v_fma_f64 v[88:89], v[134:135], s[22:23], -v[86:87]
	v_fmac_f64_e32 v[86:87], s[2:3], v[90:91]
	v_fma_f64 v[90:91], v[70:71], s[12:13], -v[142:143]
	;; [unrolled: 2-line block ×3, first 2 shown]
	v_fma_f64 v[154:155], v[78:79], s[28:29], -v[156:157]
	v_add_f64 v[82:83], v[82:83], v[158:159]
	v_fmac_f64_e32 v[132:133], s[26:27], v[74:75]
	v_fmac_f64_e32 v[152:153], s[24:25], v[78:79]
	v_add_f64 v[156:157], v[84:85], v[158:159]
	v_add_f64 v[160:161], v[86:87], v[80:81]
	;; [unrolled: 1-line block ×5, first 2 shown]
	v_fmac_f64_e32 v[142:143], s[26:27], v[68:69]
	v_fmac_f64_e32 v[90:91], s[26:27], v[68:69]
	;; [unrolled: 1-line block ×4, first 2 shown]
	v_add_f64 v[76:77], v[82:83], -v[132:133]
	v_add_f64 v[80:81], v[132:133], v[82:83]
	v_add_f64 v[128:129], v[92:93], v[182:183]
	;; [unrolled: 1-line block ×3, first 2 shown]
	v_fmac_f64_e32 v[152:153], s[26:27], v[74:75]
	v_add_f64 v[70:71], v[160:161], -v[142:143]
	v_add_f64 v[72:73], v[154:155], v[86:87]
	v_add_f64 v[74:75], v[88:89], -v[134:135]
	v_add_f64 v[78:79], v[90:91], v[84:85]
	v_add_f64 v[82:83], v[84:85], -v[90:91]
	v_add_f64 v[84:85], v[86:87], -v[154:155]
	v_add_f64 v[86:87], v[134:135], v[88:89]
	v_add_f64 v[90:91], v[142:143], v[160:161]
	;; [unrolled: 1-line block ×5, first 2 shown]
	v_add_f64 v[96:97], v[104:105], -v[96:97]
	v_add_f64 v[104:105], v[132:133], v[128:129]
	v_add_f64 v[68:69], v[152:153], v[156:157]
	v_add_f64 v[88:89], v[156:157], -v[152:153]
	v_add_f64 v[152:153], v[102:103], v[106:107]
	v_add_f64 v[102:103], v[106:107], -v[102:103]
	v_add_f64 v[106:107], v[134:135], v[130:131]
	v_add_f64 v[104:105], v[142:143], v[104:105]
	;; [unrolled: 1-line block ×4, first 2 shown]
	v_add_f64 v[92:93], v[92:93], -v[182:183]
	v_add_f64 v[98:99], v[98:99], -v[200:201]
	;; [unrolled: 1-line block ×10, first 2 shown]
	v_add_f64 v[6:7], v[6:7], v[106:107]
	v_mov_b64_e32 v[166:167], v[4:5]
	v_add_f64 v[158:159], v[96:97], v[94:95]
	v_add_f64 v[160:161], v[102:103], v[100:101]
	v_add_f64 v[162:163], v[96:97], -v[94:95]
	v_add_f64 v[164:165], v[102:103], -v[100:101]
	;; [unrolled: 1-line block ×4, first 2 shown]
	v_mul_f64 v[128:129], v[128:129], s[8:9]
	v_mul_f64 v[130:131], v[130:131], s[8:9]
	;; [unrolled: 1-line block ×4, first 2 shown]
	v_fmac_f64_e32 v[166:167], s[18:19], v[104:105]
	v_mov_b64_e32 v[104:105], v[6:7]
	v_add_f64 v[96:97], v[92:93], -v[96:97]
	v_add_f64 v[102:103], v[98:99], -v[102:103]
	v_add_f64 v[92:93], v[158:159], v[92:93]
	v_add_f64 v[98:99], v[160:161], v[98:99]
	v_mul_f64 v[158:159], v[162:163], s[14:15]
	v_mul_f64 v[160:161], v[164:165], s[14:15]
	;; [unrolled: 1-line block ×4, first 2 shown]
	v_fmac_f64_e32 v[104:105], s[18:19], v[106:107]
	v_fma_f64 v[106:107], v[154:155], s[20:21], -v[142:143]
	v_fma_f64 v[142:143], v[156:157], s[20:21], -v[152:153]
	;; [unrolled: 1-line block ×3, first 2 shown]
	v_fmac_f64_e32 v[128:129], s[2:3], v[132:133]
	v_fma_f64 v[132:133], v[156:157], s[22:23], -v[130:131]
	v_fmac_f64_e32 v[130:131], s[2:3], v[134:135]
	v_fma_f64 v[134:135], v[94:95], s[12:13], -v[158:159]
	v_fma_f64 v[154:155], v[100:101], s[12:13], -v[160:161]
	v_fmac_f64_e32 v[160:161], s[24:25], v[102:103]
	v_fma_f64 v[156:157], v[96:97], s[28:29], -v[162:163]
	v_fma_f64 v[162:163], v[102:103], s[28:29], -v[164:165]
	v_add_f64 v[164:165], v[128:129], v[166:167]
	v_add_f64 v[168:169], v[130:131], v[104:105]
	;; [unrolled: 1-line block ×6, first 2 shown]
	v_add_f64 v[126:127], v[126:127], -v[140:141]
	v_add_f64 v[140:141], v[110:111], v[176:177]
	v_fmac_f64_e32 v[158:159], s[24:25], v[96:97]
	v_add_f64 v[106:107], v[106:107], v[166:167]
	v_add_f64 v[132:133], v[132:133], v[104:105]
	v_fmac_f64_e32 v[160:161], s[26:27], v[98:99]
	v_fmac_f64_e32 v[134:135], s[26:27], v[92:93]
	;; [unrolled: 1-line block ×5, first 2 shown]
	v_add_f64 v[108:109], v[108:109], -v[150:151]
	v_add_f64 v[150:151], v[136:137], v[148:149]
	v_add_f64 v[110:111], v[110:111], -v[176:177]
	v_add_f64 v[136:137], v[136:137], -v[148:149]
	v_add_f64 v[148:149], v[124:125], v[144:145]
	v_add_f64 v[124:125], v[144:145], -v[124:125]
	v_add_f64 v[144:145], v[140:141], v[142:143]
	v_fmac_f64_e32 v[158:159], s[26:27], v[92:93]
	v_add_f64 v[92:93], v[160:161], v[164:165]
	v_add_f64 v[96:97], v[162:163], v[130:131]
	v_add_f64 v[98:99], v[132:133], -v[156:157]
	v_add_f64 v[100:101], v[106:107], -v[154:155]
	v_add_f64 v[102:103], v[134:135], v[128:129]
	v_add_f64 v[104:105], v[154:155], v[106:107]
	v_add_f64 v[106:107], v[128:129], -v[134:135]
	v_add_f64 v[128:129], v[130:131], -v[162:163]
	v_add_f64 v[130:131], v[156:157], v[132:133]
	v_add_f64 v[132:133], v[164:165], -v[160:161]
	v_add_f64 v[154:155], v[138:139], v[146:147]
	;; [unrolled: 2-line block ×3, first 2 shown]
	v_add_f64 v[160:161], v[124:125], v[110:111]
	v_add_f64 v[144:145], v[148:149], v[144:145]
	v_add_f64 v[94:95], v[168:169], -v[158:159]
	v_add_f64 v[134:135], v[158:159], v[168:169]
	v_add_f64 v[156:157], v[140:141], -v[142:143]
	v_add_f64 v[142:143], v[142:143], -v[148:149]
	;; [unrolled: 1-line block ×7, first 2 shown]
	v_add_f64 v[146:147], v[154:155], v[146:147]
	v_add_f64 v[148:149], v[160:161], v[108:109]
	v_add_f64 v[108:109], v[0:1], v[144:145]
	v_add_f64 v[158:159], v[150:151], -v[152:153]
	v_add_f64 v[152:153], v[152:153], -v[154:155]
	;; [unrolled: 1-line block ×3, first 2 shown]
	v_add_f64 v[162:163], v[138:139], v[136:137]
	v_add_f64 v[110:111], v[2:3], v[146:147]
	v_mul_f64 v[160:161], v[166:167], s[14:15]
	v_mov_b64_e32 v[166:167], v[108:109]
	v_add_f64 v[138:139], v[126:127], -v[138:139]
	v_add_f64 v[136:137], v[136:137], -v[126:127]
	v_add_f64 v[126:127], v[162:163], v[126:127]
	v_mul_f64 v[2:3], v[152:153], s[8:9]
	v_mul_f64 v[152:153], v[150:151], s[2:3]
	;; [unrolled: 1-line block ×4, first 2 shown]
	v_fmac_f64_e32 v[166:167], s[18:19], v[144:145]
	v_mov_b64_e32 v[144:145], v[110:111]
	v_mul_f64 v[0:1], v[142:143], s[8:9]
	v_mul_f64 v[142:143], v[140:141], s[2:3]
	v_fmac_f64_e32 v[144:145], s[18:19], v[146:147]
	v_fma_f64 v[146:147], v[158:159], s[20:21], -v[152:153]
	v_fma_f64 v[152:153], v[158:159], s[22:23], -v[2:3]
	v_fmac_f64_e32 v[2:3], s[2:3], v[150:151]
	v_fma_f64 v[150:151], v[168:169], s[12:13], -v[154:155]
	v_fma_f64 v[158:159], v[124:125], s[28:29], -v[162:163]
	v_mul_f64 v[164:165], v[136:137], s[12:13]
	v_fma_f64 v[142:143], v[156:157], s[20:21], -v[142:143]
	v_add_f64 v[146:147], v[146:147], v[144:145]
	v_add_f64 v[152:153], v[152:153], v[144:145]
	v_fmac_f64_e32 v[150:151], s[26:27], v[148:149]
	v_fmac_f64_e32 v[158:159], s[26:27], v[148:149]
	v_fma_f64 v[140:141], s[2:3], v[140:141], v[0:1]
	v_fma_f64 v[0:1], v[156:157], s[22:23], -v[0:1]
	v_fma_f64 v[156:157], s[24:25], v[124:125], v[154:155]
	v_fma_f64 v[154:155], v[136:137], s[12:13], -v[160:161]
	v_fmac_f64_e32 v[160:161], s[24:25], v[138:139]
	v_fma_f64 v[162:163], v[138:139], s[28:29], -v[164:165]
	v_add_f64 v[168:169], v[142:143], v[166:167]
	v_add_f64 v[138:139], v[152:153], -v[158:159]
	v_add_f64 v[142:143], v[150:151], v[146:147]
	v_add_f64 v[146:147], v[146:147], -v[150:151]
	v_add_f64 v[150:151], v[158:159], v[152:153]
	s_waitcnt lgkmcnt(0)
	; wave barrier
	scratch_load_dword v152, off, off offset:36 ; 4-byte Folded Reload
	s_waitcnt vmcnt(0)
	ds_write_b128 v152, v[16:19]
	ds_write_b128 v152, v[20:23] offset:64
	ds_write_b128 v152, v[24:27] offset:128
	ds_write_b128 v152, v[28:31] offset:192
	ds_write_b128 v152, v[32:35] offset:256
	ds_write_b128 v152, v[36:39] offset:320
	ds_write_b128 v152, v[40:43] offset:384
	scratch_load_dword v16, off, off offset:40 ; 4-byte Folded Reload
	s_waitcnt vmcnt(0)
	ds_write_b128 v16, v[12:15]
	ds_write_b128 v16, v[44:47] offset:64
	ds_write_b128 v16, v[48:51] offset:128
	ds_write_b128 v16, v[52:55] offset:192
	ds_write_b128 v16, v[56:59] offset:256
	ds_write_b128 v16, v[60:63] offset:320
	ds_write_b128 v16, v[64:67] offset:384
	scratch_load_dword v12, off, off offset:48 ; 4-byte Folded Reload
	s_waitcnt vmcnt(0)
	ds_write_b128 v12, v[8:11]
	ds_write_b128 v12, v[68:71] offset:64
	ds_write_b128 v12, v[72:75] offset:128
	ds_write_b128 v12, v[76:79] offset:192
	ds_write_b128 v12, v[80:83] offset:256
	ds_write_b128 v12, v[84:87] offset:320
	ds_write_b128 v12, v[88:91] offset:384
	scratch_load_dword v8, off, off offset:52 ; 4-byte Folded Reload
	s_waitcnt vmcnt(0)
	ds_write_b128 v8, v[4:7]
	ds_write_b128 v8, v[92:95] offset:64
	ds_write_b128 v8, v[96:99] offset:128
	ds_write_b128 v8, v[100:103] offset:192
	ds_write_b128 v8, v[104:107] offset:256
	ds_write_b128 v8, v[128:131] offset:320
	ds_write_b128 v8, v[132:135] offset:384
	scratch_load_dword v4, off, off offset:56 ; 4-byte Folded Reload
	v_add_f64 v[0:1], v[0:1], v[166:167]
	v_fmac_f64_e32 v[154:155], s[26:27], v[126:127]
	v_fmac_f64_e32 v[162:163], s[26:27], v[126:127]
	v_add_f64 v[164:165], v[140:141], v[166:167]
	v_add_f64 v[2:3], v[2:3], v[144:145]
	v_fmac_f64_e32 v[156:157], s[26:27], v[148:149]
	v_fmac_f64_e32 v[160:161], s[26:27], v[126:127]
	v_add_f64 v[136:137], v[162:163], v[0:1]
	v_add_f64 v[140:141], v[168:169], -v[154:155]
	v_add_f64 v[144:145], v[154:155], v[168:169]
	v_add_f64 v[148:149], v[0:1], -v[162:163]
	;; [unrolled: 2-line block ×3, first 2 shown]
	v_add_f64 v[0:1], v[164:165], -v[160:161]
	v_add_f64 v[2:3], v[156:157], v[2:3]
	s_waitcnt vmcnt(0)
	ds_write_b128 v4, v[108:111]
	ds_write_b128 v4, v[124:127] offset:64
	ds_write_b128 v4, v[136:139] offset:128
	;; [unrolled: 1-line block ×6, first 2 shown]
	s_waitcnt lgkmcnt(0)
	; wave barrier
	s_waitcnt lgkmcnt(0)
	ds_read_b128 v[68:71], v172
	ds_read_b128 v[64:67], v172 offset:896
	ds_read_b128 v[200:203], v172 offset:16576
	ds_read_b128 v[148:151], v172 offset:17472
	ds_read_b128 v[60:63], v172 offset:1792
	ds_read_b128 v[56:59], v172 offset:2688
	ds_read_b128 v[144:147], v172 offset:18368
	ds_read_b128 v[140:143], v172 offset:19264
	ds_read_b128 v[52:55], v172 offset:3584
	ds_read_b128 v[48:51], v172 offset:4480
	ds_read_b128 v[136:139], v172 offset:20160
	ds_read_b128 v[132:135], v172 offset:21056
	ds_read_b128 v[44:47], v172 offset:5376
	ds_read_b128 v[40:43], v172 offset:6272
	ds_read_b128 v[128:131], v172 offset:21952
	ds_read_b128 v[104:107], v172 offset:22848
	ds_read_b128 v[36:39], v172 offset:7168
	ds_read_b128 v[32:35], v172 offset:8064
	ds_read_b128 v[100:103], v172 offset:23744
	ds_read_b128 v[96:99], v172 offset:24640
	ds_read_b128 v[28:31], v172 offset:8960
	ds_read_b128 v[24:27], v172 offset:9856
	ds_read_b128 v[92:95], v172 offset:25536
	ds_read_b128 v[88:91], v172 offset:26432
	ds_read_b128 v[20:23], v172 offset:10752
	ds_read_b128 v[16:19], v172 offset:11648
	ds_read_b128 v[84:87], v172 offset:27328
	ds_read_b128 v[76:79], v172 offset:28224
	ds_read_b128 v[12:15], v172 offset:12544
	ds_read_b128 v[8:11], v172 offset:13440
	ds_read_b128 v[204:207], v172 offset:15680
	ds_read_b128 v[4:7], v172 offset:14336
	ds_read_b128 v[80:83], v172 offset:29120
	ds_read_b128 v[72:75], v172 offset:30016
	s_and_saveexec_b64 s[2:3], s[0:1]
	s_cbranch_execz .LBB0_19
; %bb.18:
	ds_read_b128 v[0:3], v172 offset:15232
	ds_read_b128 v[208:211], v172 offset:30912
.LBB0_19:
	s_or_b64 exec, exec, s[2:3]
	v_accvgpr_read_b32 v124, a154
	v_accvgpr_read_b32 v126, a156
	;; [unrolled: 1-line block ×5, first 2 shown]
	s_waitcnt lgkmcnt(3)
	v_mul_f64 v[108:109], v[126:127], v[206:207]
	v_mul_f64 v[110:111], v[126:127], v[204:205]
	v_accvgpr_read_b32 v154, a152
	v_fmac_f64_e32 v[108:109], v[124:125], v[204:205]
	v_fma_f64 v[110:111], v[124:125], v[206:207], -v[110:111]
	v_mul_f64 v[124:125], v[154:155], v[202:203]
	v_mul_f64 v[126:127], v[154:155], v[200:201]
	v_accvgpr_read_b32 v154, a162
	v_accvgpr_read_b32 v153, a151
	;; [unrolled: 1-line block ×5, first 2 shown]
	v_fmac_f64_e32 v[124:125], v[152:153], v[200:201]
	v_fma_f64 v[126:127], v[152:153], v[202:203], -v[126:127]
	v_accvgpr_read_b32 v155, a163
	v_mul_f64 v[152:153], v[156:157], v[150:151]
	v_fmac_f64_e32 v[152:153], v[154:155], v[148:149]
	v_mul_f64 v[148:149], v[156:157], v[148:149]
	v_fma_f64 v[148:149], v[154:155], v[150:151], -v[148:149]
	v_accvgpr_read_b32 v154, a158
	v_accvgpr_read_b32 v156, a160
	v_accvgpr_read_b32 v157, a161
	v_accvgpr_read_b32 v155, a159
	v_mul_f64 v[150:151], v[156:157], v[146:147]
	v_fmac_f64_e32 v[150:151], v[154:155], v[144:145]
	v_mul_f64 v[144:145], v[156:157], v[144:145]
	v_fma_f64 v[144:145], v[154:155], v[146:147], -v[144:145]
	v_accvgpr_read_b32 v154, a170
	v_accvgpr_read_b32 v156, a172
	v_accvgpr_read_b32 v157, a173
	;; [unrolled: 8-line block ×6, first 2 shown]
	v_accvgpr_read_b32 v155, a187
	v_mul_f64 v[130:131], v[156:157], v[106:107]
	v_fmac_f64_e32 v[130:131], v[154:155], v[104:105]
	v_mul_f64 v[104:105], v[156:157], v[104:105]
	v_accvgpr_read_b32 v156, a182
	v_accvgpr_read_b32 v158, a184
	;; [unrolled: 1-line block ×3, first 2 shown]
	v_fma_f64 v[106:107], v[154:155], v[106:107], -v[104:105]
	v_accvgpr_read_b32 v157, a183
	v_mul_f64 v[154:155], v[158:159], v[102:103]
	v_fmac_f64_e32 v[154:155], v[156:157], v[100:101]
	v_mul_f64 v[100:101], v[158:159], v[100:101]
	v_fma_f64 v[156:157], v[156:157], v[102:103], -v[100:101]
	v_accvgpr_read_b32 v100, a196
	v_accvgpr_read_b32 v102, a198
	v_accvgpr_read_b32 v103, a199
	v_accvgpr_read_b32 v101, a197
	v_mul_f64 v[158:159], v[102:103], v[98:99]
	v_fmac_f64_e32 v[158:159], v[100:101], v[96:97]
	v_mul_f64 v[96:97], v[102:103], v[96:97]
	v_fma_f64 v[160:161], v[100:101], v[98:99], -v[96:97]
	v_accvgpr_read_b32 v96, a190
	v_accvgpr_read_b32 v98, a192
	v_accvgpr_read_b32 v99, a193
	;; [unrolled: 8-line block ×6, first 2 shown]
	v_accvgpr_read_b32 v85, a221
	s_waitcnt lgkmcnt(1)
	v_mul_f64 v[182:183], v[86:87], v[82:83]
	v_fmac_f64_e32 v[182:183], v[84:85], v[80:81]
	v_mul_f64 v[76:77], v[86:87], v[80:81]
	v_add_f64 v[80:81], v[60:61], -v[152:153]
	s_waitcnt lgkmcnt(0)
	; wave barrier
	s_waitcnt lgkmcnt(0)
	scratch_load_dword v152, off, off offset:60 ; 4-byte Folded Reload
	v_fma_f64 v[200:201], v[84:85], v[82:83], -v[76:77]
	v_accvgpr_read_b32 v76, a228
	v_accvgpr_read_b32 v78, a230
	;; [unrolled: 1-line block ×4, first 2 shown]
	v_mul_f64 v[202:203], v[78:79], v[74:75]
	v_fmac_f64_e32 v[202:203], v[76:77], v[72:73]
	v_mul_f64 v[72:73], v[78:79], v[72:73]
	v_fma_f64 v[204:205], v[76:77], v[74:75], -v[72:73]
	v_add_f64 v[72:73], v[68:69], -v[108:109]
	v_add_f64 v[74:75], v[70:71], -v[110:111]
	v_fma_f64 v[68:69], v[68:69], 2.0, -v[72:73]
	v_fma_f64 v[70:71], v[70:71], 2.0, -v[74:75]
	s_waitcnt vmcnt(0)
	ds_write_b128 v152, v[68:71]
	ds_write_b128 v152, v[72:75] offset:448
	scratch_load_dword v68, off, off offset:64 ; 4-byte Folded Reload
	v_add_f64 v[76:77], v[64:65], -v[124:125]
	v_add_f64 v[78:79], v[66:67], -v[126:127]
	v_fma_f64 v[64:65], v[64:65], 2.0, -v[76:77]
	v_fma_f64 v[66:67], v[66:67], 2.0, -v[78:79]
	v_add_f64 v[82:83], v[62:63], -v[148:149]
	v_fma_f64 v[60:61], v[60:61], 2.0, -v[80:81]
	s_waitcnt vmcnt(0)
	ds_write_b128 v68, v[64:67]
	ds_write_b128 v68, v[76:79] offset:448
	scratch_load_dword v64, off, off offset:68 ; 4-byte Folded Reload
	v_fma_f64 v[62:63], v[62:63], 2.0, -v[82:83]
	v_add_f64 v[84:85], v[56:57], -v[150:151]
	v_add_f64 v[86:87], v[58:59], -v[144:145]
	v_fma_f64 v[56:57], v[56:57], 2.0, -v[84:85]
	v_fma_f64 v[58:59], v[58:59], 2.0, -v[86:87]
	v_add_f64 v[88:89], v[52:53], -v[146:147]
	s_waitcnt vmcnt(0)
	ds_write_b128 v64, v[60:63]
	ds_write_b128 v64, v[80:83] offset:448
	scratch_load_dword v60, off, off offset:72 ; 4-byte Folded Reload
	v_add_f64 v[90:91], v[54:55], -v[140:141]
	v_fma_f64 v[52:53], v[52:53], 2.0, -v[88:89]
	v_fma_f64 v[54:55], v[54:55], 2.0, -v[90:91]
	v_add_f64 v[92:93], v[48:49], -v[142:143]
	v_add_f64 v[94:95], v[50:51], -v[136:137]
	v_fma_f64 v[48:49], v[48:49], 2.0, -v[92:93]
	s_waitcnt vmcnt(0)
	ds_write_b128 v60, v[56:59]
	ds_write_b128 v60, v[84:87] offset:448
	scratch_load_dword v56, off, off offset:76 ; 4-byte Folded Reload
	v_fma_f64 v[50:51], v[50:51], 2.0, -v[94:95]
	v_add_f64 v[96:97], v[44:45], -v[138:139]
	v_add_f64 v[98:99], v[46:47], -v[132:133]
	v_fma_f64 v[44:45], v[44:45], 2.0, -v[96:97]
	v_fma_f64 v[46:47], v[46:47], 2.0, -v[98:99]
	v_add_f64 v[100:101], v[40:41], -v[134:135]
	s_waitcnt vmcnt(0)
	ds_write_b128 v56, v[52:55]
	ds_write_b128 v56, v[88:91] offset:448
	scratch_load_dword v52, off, off offset:80 ; 4-byte Folded Reload
	v_add_f64 v[102:103], v[42:43], -v[128:129]
	v_fma_f64 v[40:41], v[40:41], 2.0, -v[100:101]
	v_fma_f64 v[42:43], v[42:43], 2.0, -v[102:103]
	v_add_f64 v[104:105], v[36:37], -v[130:131]
	;; [unrolled: 20-line block ×4, first 2 shown]
	v_add_f64 v[142:143], v[14:15], -v[180:181]
	v_fma_f64 v[12:13], v[12:13], 2.0, -v[140:141]
	s_waitcnt vmcnt(0)
	ds_write_b128 v36, v[32:35]
	ds_write_b128 v36, v[108:111] offset:448
	scratch_load_dword v32, off, off offset:100 ; 4-byte Folded Reload
	v_fma_f64 v[14:15], v[14:15], 2.0, -v[142:143]
	v_add_f64 v[144:145], v[8:9], -v[182:183]
	v_add_f64 v[146:147], v[10:11], -v[200:201]
	v_fma_f64 v[8:9], v[8:9], 2.0, -v[144:145]
	v_fma_f64 v[10:11], v[10:11], 2.0, -v[146:147]
	v_add_f64 v[148:149], v[4:5], -v[202:203]
	s_waitcnt vmcnt(0)
	ds_write_b128 v32, v[28:31]
	ds_write_b128 v32, v[124:127] offset:448
	scratch_load_dword v28, off, off offset:104 ; 4-byte Folded Reload
	v_add_f64 v[150:151], v[6:7], -v[204:205]
	v_fma_f64 v[4:5], v[4:5], 2.0, -v[148:149]
	v_fma_f64 v[6:7], v[6:7], 2.0, -v[150:151]
	s_waitcnt vmcnt(0)
	ds_write_b128 v28, v[24:27]
	ds_write_b128 v28, v[128:131] offset:448
	v_accvgpr_read_b32 v24, a5
	ds_write_b128 v24, v[20:23]
	ds_write_b128 v24, v[132:135] offset:448
	scratch_load_dword v20, off, off offset:172 ; 4-byte Folded Reload
	s_waitcnt vmcnt(0)
	ds_write_b128 v20, v[16:19]
	ds_write_b128 v20, v[136:139] offset:448
	v_accvgpr_read_b32 v16, a85
	ds_write_b128 v16, v[12:15]
	ds_write_b128 v16, v[140:143] offset:448
	v_accvgpr_read_b32 v12, a195
	;; [unrolled: 3-line block ×3, first 2 shown]
	ds_write_b128 v8, v[4:7]
	ds_write_b128 v8, v[148:151] offset:448
	s_and_saveexec_b64 s[2:3], s[0:1]
	s_cbranch_execz .LBB0_21
; %bb.20:
	v_accvgpr_read_b32 v10, a146
	v_accvgpr_read_b32 v12, a148
	;; [unrolled: 1-line block ×4, first 2 shown]
	v_mul_f64 v[4:5], v[12:13], v[208:209]
	v_fma_f64 v[4:5], v[10:11], v[210:211], -v[4:5]
	v_add_f64 v[4:5], v[2:3], -v[4:5]
	v_fma_f64 v[8:9], v[2:3], 2.0, -v[4:5]
	v_mul_f64 v[2:3], v[12:13], v[210:211]
	v_fmac_f64_e32 v[2:3], v[10:11], v[208:209]
	v_add_f64 v[2:3], v[0:1], -v[2:3]
	v_fma_f64 v[6:7], v[0:1], 2.0, -v[2:3]
	scratch_load_dword v0, off, off offset:44 ; 4-byte Folded Reload
	s_waitcnt vmcnt(0)
	ds_write_b128 v0, v[6:9] offset:30464
	ds_write_b128 v0, v[2:5] offset:30912
.LBB0_21:
	s_or_b64 exec, exec, s[2:3]
	s_waitcnt lgkmcnt(0)
	; wave barrier
	s_waitcnt lgkmcnt(0)
	ds_read_b128 v[0:3], v172 offset:4480
	v_accvgpr_read_b32 v16, a94
	v_accvgpr_read_b32 v18, a96
	v_accvgpr_read_b32 v19, a97
	v_accvgpr_read_b32 v17, a95
	s_waitcnt lgkmcnt(0)
	v_mul_f64 v[4:5], v[238:239], v[2:3]
	v_fmac_f64_e32 v[4:5], v[236:237], v[0:1]
	v_mul_f64 v[0:1], v[238:239], v[0:1]
	v_fma_f64 v[6:7], v[236:237], v[2:3], -v[0:1]
	ds_read_b128 v[0:3], v172 offset:5376
	v_accvgpr_read_b32 v23, a9
	v_accvgpr_read_b32 v22, a8
	v_accvgpr_read_b32 v21, a7
	v_accvgpr_read_b32 v20, a6
	s_waitcnt lgkmcnt(0)
	v_mul_f64 v[32:33], v[238:239], v[2:3]
	v_fmac_f64_e32 v[32:33], v[236:237], v[0:1]
	v_mul_f64 v[0:1], v[238:239], v[0:1]
	v_fma_f64 v[34:35], v[236:237], v[2:3], -v[0:1]
	;; [unrolled: 10-line block ×3, first 2 shown]
	ds_read_b128 v[0:3], v172 offset:9856
	s_mov_b32 s14, 0xaaaaaaaa
	s_mov_b32 s15, 0xbff2aaaa
	s_mov_b32 s0, 0x36b3c0b5
	s_mov_b32 s18, 0xe976ee23
	s_waitcnt lgkmcnt(0)
	v_mul_f64 v[36:37], v[234:235], v[2:3]
	v_fmac_f64_e32 v[36:37], v[232:233], v[0:1]
	v_mul_f64 v[0:1], v[234:235], v[0:1]
	v_fma_f64 v[38:39], v[232:233], v[2:3], -v[0:1]
	ds_read_b128 v[0:3], v172 offset:13440
	s_mov_b32 s8, 0x429ad128
	s_mov_b32 s22, 0x37e14327
	s_mov_b32 s1, 0x3fac98ee
	s_mov_b32 s19, 0x3fe11646
	s_waitcnt lgkmcnt(0)
	v_mul_f64 v[12:13], v[18:19], v[2:3]
	v_fmac_f64_e32 v[12:13], v[16:17], v[0:1]
	v_mul_f64 v[0:1], v[18:19], v[0:1]
	v_fma_f64 v[14:15], v[16:17], v[2:3], -v[0:1]
	;; [unrolled: 10-line block ×4, first 2 shown]
	ds_read_b128 v[0:3], v172 offset:18816
	v_add_f64 v[56:57], v[12:13], v[16:17]
	v_add_f64 v[140:141], v[14:15], v[18:19]
	v_add_f64 v[12:13], v[16:17], -v[12:13]
	v_add_f64 v[14:15], v[18:19], -v[14:15]
	s_waitcnt lgkmcnt(0)
	v_mul_f64 v[44:45], v[22:23], v[2:3]
	v_fmac_f64_e32 v[44:45], v[20:21], v[0:1]
	v_mul_f64 v[0:1], v[22:23], v[0:1]
	v_fma_f64 v[46:47], v[20:21], v[2:3], -v[0:1]
	ds_read_b128 v[0:3], v172 offset:22400
	s_mov_b32 s26, s12
	s_mov_b32 s3, 0xbfdc38aa
	s_waitcnt lgkmcnt(0)
	v_mul_f64 v[20:21], v[246:247], v[2:3]
	v_fmac_f64_e32 v[20:21], v[244:245], v[0:1]
	v_mul_f64 v[0:1], v[246:247], v[0:1]
	v_fma_f64 v[22:23], v[244:245], v[2:3], -v[0:1]
	ds_read_b128 v[0:3], v172 offset:23296
	v_add_f64 v[138:139], v[10:11], v[22:23]
	s_waitcnt lgkmcnt(0)
	v_mul_f64 v[48:49], v[246:247], v[2:3]
	v_fmac_f64_e32 v[48:49], v[244:245], v[0:1]
	v_mul_f64 v[0:1], v[246:247], v[0:1]
	v_fma_f64 v[50:51], v[244:245], v[2:3], -v[0:1]
	ds_read_b128 v[0:3], v172 offset:26880
	s_waitcnt lgkmcnt(0)
	v_mul_f64 v[24:25], v[242:243], v[2:3]
	v_fmac_f64_e32 v[24:25], v[240:241], v[0:1]
	v_mul_f64 v[0:1], v[242:243], v[0:1]
	v_fma_f64 v[26:27], v[240:241], v[2:3], -v[0:1]
	ds_read_b128 v[0:3], v172 offset:27776
	v_add_f64 v[136:137], v[6:7], v[26:27]
	v_add_f64 v[26:27], v[6:7], -v[26:27]
	v_add_f64 v[6:7], v[10:11], -v[22:23]
	;; [unrolled: 1-line block ×3, first 2 shown]
	s_waitcnt lgkmcnt(0)
	v_mul_f64 v[52:53], v[242:243], v[2:3]
	v_fmac_f64_e32 v[52:53], v[240:241], v[0:1]
	v_mul_f64 v[0:1], v[242:243], v[0:1]
	v_fma_f64 v[54:55], v[240:241], v[2:3], -v[0:1]
	ds_read_b128 v[0:3], v172 offset:6272
	v_add_f64 v[144:145], v[6:7], -v[26:27]
	s_waitcnt lgkmcnt(0)
	v_mul_f64 v[60:61], v[30:31], v[2:3]
	v_fmac_f64_e32 v[60:61], v[28:29], v[0:1]
	v_mul_f64 v[0:1], v[30:31], v[0:1]
	v_fma_f64 v[62:63], v[28:29], v[2:3], -v[0:1]
	ds_read_b128 v[0:3], v172 offset:10752
	v_accvgpr_read_b32 v28, a86
	v_accvgpr_read_b32 v30, a88
	v_accvgpr_read_b32 v31, a89
	v_accvgpr_read_b32 v29, a87
	s_waitcnt lgkmcnt(0)
	v_mul_f64 v[64:65], v[30:31], v[2:3]
	v_fmac_f64_e32 v[64:65], v[28:29], v[0:1]
	v_mul_f64 v[0:1], v[30:31], v[0:1]
	v_fma_f64 v[66:67], v[28:29], v[2:3], -v[0:1]
	ds_read_b128 v[0:3], v172 offset:15232
	v_accvgpr_read_b32 v28, a80
	v_accvgpr_read_b32 v30, a82
	v_accvgpr_read_b32 v31, a83
	v_accvgpr_read_b32 v29, a81
	;; [unrolled: 10-line block ×17, first 2 shown]
	s_waitcnt lgkmcnt(0)
	v_mul_f64 v[92:93], v[30:31], v[2:3]
	v_fmac_f64_e32 v[92:93], v[28:29], v[0:1]
	v_mul_f64 v[0:1], v[30:31], v[0:1]
	v_fma_f64 v[94:95], v[28:29], v[2:3], -v[0:1]
	v_add_f64 v[28:29], v[4:5], v[24:25]
	v_add_f64 v[30:31], v[8:9], v[20:21]
	v_add_f64 v[0:1], v[30:31], v[28:29]
	v_add_f64 v[58:59], v[56:57], v[0:1]
	v_add_f64 v[0:1], v[138:139], v[136:137]
	v_add_f64 v[142:143], v[140:141], v[0:1]
	ds_read_b128 v[0:3], v172
	v_add_f64 v[24:25], v[4:5], -v[24:25]
	v_add_f64 v[4:5], v[8:9], -v[20:21]
	;; [unrolled: 1-line block ×4, first 2 shown]
	s_waitcnt lgkmcnt(0)
	v_add_f64 v[0:1], v[0:1], v[58:59]
	v_add_f64 v[2:3], v[2:3], v[142:143]
	v_mov_b64_e32 v[16:17], v[0:1]
	v_mov_b64_e32 v[18:19], v[2:3]
	v_fmac_f64_e32 v[16:17], s[14:15], v[58:59]
	v_fmac_f64_e32 v[18:19], s[14:15], v[142:143]
	v_add_f64 v[58:59], v[140:141], -v[138:139]
	v_add_f64 v[8:9], v[12:13], v[4:5]
	v_add_f64 v[10:11], v[12:13], -v[4:5]
	v_add_f64 v[138:139], v[4:5], -v[24:25]
	v_add_f64 v[4:5], v[14:15], v[6:7]
	v_add_f64 v[142:143], v[14:15], -v[6:7]
	v_add_f64 v[28:29], v[28:29], -v[56:57]
	;; [unrolled: 1-line block ×3, first 2 shown]
	v_add_f64 v[146:147], v[8:9], v[24:25]
	v_add_f64 v[152:153], v[4:5], v[26:27]
	v_mul_f64 v[142:143], v[142:143], s[18:19]
	v_mul_f64 v[4:5], v[30:31], s[0:1]
	;; [unrolled: 1-line block ×3, first 2 shown]
	v_add_f64 v[24:25], v[24:25], -v[12:13]
	v_add_f64 v[26:27], v[26:27], -v[14:15]
	v_mul_f64 v[28:29], v[28:29], s[22:23]
	v_mul_f64 v[56:57], v[56:57], s[22:23]
	;; [unrolled: 1-line block ×5, first 2 shown]
	v_fma_f64 v[4:5], v[20:21], s[20:21], -v[4:5]
	v_fma_f64 v[6:7], v[22:23], s[20:21], -v[6:7]
	;; [unrolled: 1-line block ×7, first 2 shown]
	v_fmac_f64_e32 v[28:29], s[0:1], v[30:31]
	v_fmac_f64_e32 v[56:57], s[0:1], v[58:59]
	;; [unrolled: 1-line block ×3, first 2 shown]
	v_add_f64 v[4:5], v[4:5], v[16:17]
	v_add_f64 v[6:7], v[6:7], v[18:19]
	v_fma_f64 v[156:157], v[138:139], s[8:9], -v[154:155]
	v_add_f64 v[14:15], v[20:21], v[16:17]
	v_add_f64 v[138:139], v[22:23], v[18:19]
	v_fmac_f64_e32 v[136:137], s[2:3], v[146:147]
	v_fmac_f64_e32 v[12:13], s[2:3], v[152:153]
	v_add_f64 v[16:17], v[28:29], v[16:17]
	v_add_f64 v[18:19], v[56:57], v[18:19]
	v_fmac_f64_e32 v[142:143], s[2:3], v[152:153]
	v_add_f64 v[56:57], v[32:33], v[52:53]
	v_add_f64 v[58:59], v[36:37], v[48:49]
	;; [unrolled: 1-line block ×3, first 2 shown]
	v_add_f64 v[22:23], v[138:139], -v[136:137]
	v_add_f64 v[12:13], v[14:15], -v[12:13]
	v_add_f64 v[14:15], v[136:137], v[138:139]
	v_fmac_f64_e32 v[154:155], s[12:13], v[24:25]
	v_add_f64 v[28:29], v[142:143], v[16:17]
	v_add_f64 v[16:17], v[16:17], -v[142:143]
	v_add_f64 v[136:137], v[40:41], v[44:45]
	v_add_f64 v[24:25], v[58:59], v[56:57]
	;; [unrolled: 1-line block ×7, first 2 shown]
	v_fmac_f64_e32 v[156:157], s[2:3], v[146:147]
	v_fmac_f64_e32 v[154:155], s[2:3], v[146:147]
	v_add_f64 v[146:147], v[144:145], v[24:25]
	ds_read_b128 v[24:27], v172 offset:896
	v_add_f64 v[52:53], v[32:33], -v[52:53]
	v_add_f64 v[54:55], v[34:35], -v[54:55]
	;; [unrolled: 1-line block ×4, first 2 shown]
	s_waitcnt lgkmcnt(0)
	v_add_f64 v[24:25], v[24:25], v[138:139]
	v_add_f64 v[26:27], v[26:27], v[146:147]
	v_add_f64 v[40:41], v[44:45], -v[40:41]
	v_add_f64 v[42:43], v[46:47], -v[42:43]
	v_mov_b64_e32 v[44:45], v[24:25]
	v_mov_b64_e32 v[46:47], v[26:27]
	v_fmac_f64_e32 v[158:159], s[2:3], v[152:153]
	v_fmac_f64_e32 v[44:45], s[14:15], v[138:139]
	;; [unrolled: 1-line block ×3, first 2 shown]
	v_add_f64 v[48:49], v[58:59], -v[56:57]
	v_add_f64 v[58:59], v[136:137], -v[58:59]
	;; [unrolled: 1-line block ×4, first 2 shown]
	v_add_f64 v[36:37], v[40:41], v[32:33]
	v_add_f64 v[38:39], v[40:41], -v[32:33]
	v_add_f64 v[142:143], v[32:33], -v[52:53]
	v_add_f64 v[32:33], v[42:43], v[34:35]
	v_add_f64 v[146:147], v[42:43], -v[34:35]
	v_add_f64 v[152:153], v[34:35], -v[54:55]
	;; [unrolled: 1-line block ×4, first 2 shown]
	v_add_f64 v[10:11], v[156:157], v[6:7]
	v_add_f64 v[6:7], v[6:7], -v[156:157]
	v_add_f64 v[30:31], v[18:19], -v[154:155]
	v_add_f64 v[18:19], v[154:155], v[18:19]
	v_add_f64 v[154:155], v[36:37], v[52:53]
	;; [unrolled: 1-line block ×3, first 2 shown]
	v_mul_f64 v[146:147], v[146:147], s[18:19]
	v_mul_f64 v[32:33], v[58:59], s[0:1]
	;; [unrolled: 1-line block ×3, first 2 shown]
	v_add_f64 v[52:53], v[52:53], -v[40:41]
	v_add_f64 v[54:55], v[54:55], -v[42:43]
	v_mul_f64 v[56:57], v[56:57], s[22:23]
	v_mul_f64 v[136:137], v[136:137], s[22:23]
	;; [unrolled: 1-line block ×4, first 2 shown]
	v_add_f64 v[8:9], v[4:5], -v[158:159]
	v_add_f64 v[4:5], v[158:159], v[4:5]
	v_mul_f64 v[158:159], v[38:39], s[18:19]
	v_fma_f64 v[32:33], v[48:49], s[20:21], -v[32:33]
	v_fma_f64 v[34:35], v[50:51], s[20:21], -v[34:35]
	;; [unrolled: 1-line block ×7, first 2 shown]
	v_fmac_f64_e32 v[56:57], s[0:1], v[58:59]
	v_fmac_f64_e32 v[136:137], s[0:1], v[138:139]
	v_fmac_f64_e32 v[146:147], s[12:13], v[54:55]
	v_add_f64 v[32:33], v[32:33], v[44:45]
	v_add_f64 v[34:35], v[34:35], v[46:47]
	v_fma_f64 v[160:161], v[142:143], s[8:9], -v[158:159]
	v_add_f64 v[42:43], v[48:49], v[44:45]
	v_add_f64 v[142:143], v[50:51], v[46:47]
	v_fmac_f64_e32 v[140:141], s[2:3], v[154:155]
	v_fmac_f64_e32 v[40:41], s[2:3], v[156:157]
	v_add_f64 v[44:45], v[56:57], v[44:45]
	v_add_f64 v[46:47], v[136:137], v[46:47]
	v_fmac_f64_e32 v[146:147], s[2:3], v[156:157]
	v_add_f64 v[136:137], v[60:61], v[132:133]
	v_add_f64 v[138:139], v[64:65], v[128:129]
	;; [unrolled: 1-line block ×3, first 2 shown]
	v_add_f64 v[50:51], v[142:143], -v[140:141]
	v_add_f64 v[40:41], v[42:43], -v[40:41]
	v_add_f64 v[42:43], v[140:141], v[142:143]
	v_fmac_f64_e32 v[158:159], s[12:13], v[52:53]
	v_add_f64 v[56:57], v[146:147], v[44:45]
	v_add_f64 v[44:45], v[44:45], -v[146:147]
	v_add_f64 v[140:141], v[68:69], v[124:125]
	v_add_f64 v[52:53], v[138:139], v[136:137]
	;; [unrolled: 1-line block ×7, first 2 shown]
	v_fmac_f64_e32 v[160:161], s[2:3], v[154:155]
	v_fmac_f64_e32 v[158:159], s[2:3], v[154:155]
	v_add_f64 v[154:155], v[152:153], v[52:53]
	ds_read_b128 v[52:55], v172 offset:1792
	v_add_f64 v[132:133], v[60:61], -v[132:133]
	v_add_f64 v[134:135], v[62:63], -v[134:135]
	;; [unrolled: 1-line block ×4, first 2 shown]
	s_waitcnt lgkmcnt(0)
	v_add_f64 v[52:53], v[52:53], v[142:143]
	v_add_f64 v[54:55], v[54:55], v[154:155]
	v_add_f64 v[64:65], v[124:125], -v[68:69]
	v_add_f64 v[66:67], v[126:127], -v[70:71]
	v_mov_b64_e32 v[68:69], v[52:53]
	v_mov_b64_e32 v[70:71], v[54:55]
	v_fmac_f64_e32 v[162:163], s[2:3], v[156:157]
	v_fmac_f64_e32 v[68:69], s[14:15], v[142:143]
	;; [unrolled: 1-line block ×3, first 2 shown]
	v_add_f64 v[124:125], v[138:139], -v[136:137]
	v_add_f64 v[126:127], v[140:141], -v[138:139]
	;; [unrolled: 1-line block ×4, first 2 shown]
	v_add_f64 v[128:129], v[64:65], v[60:61]
	v_add_f64 v[130:131], v[64:65], -v[60:61]
	v_add_f64 v[142:143], v[60:61], -v[132:133]
	v_add_f64 v[60:61], v[66:67], v[62:63]
	v_add_f64 v[154:155], v[66:67], -v[62:63]
	v_add_f64 v[136:137], v[136:137], -v[140:141]
	;; [unrolled: 1-line block ×4, first 2 shown]
	v_add_f64 v[38:39], v[160:161], v[34:35]
	v_add_f64 v[32:33], v[162:163], v[32:33]
	v_add_f64 v[34:35], v[34:35], -v[160:161]
	v_add_f64 v[156:157], v[62:63], -v[134:135]
	v_add_f64 v[160:161], v[60:61], v[134:135]
	v_mul_f64 v[162:163], v[130:131], s[18:19]
	v_mul_f64 v[154:155], v[154:155], s[18:19]
	;; [unrolled: 1-line block ×4, first 2 shown]
	v_add_f64 v[64:65], v[132:133], -v[64:65]
	v_add_f64 v[66:67], v[134:135], -v[66:67]
	v_mul_f64 v[136:137], v[136:137], s[22:23]
	v_mul_f64 v[144:145], v[140:141], s[22:23]
	v_add_f64 v[58:59], v[46:47], -v[158:159]
	v_add_f64 v[46:47], v[158:159], v[46:47]
	v_add_f64 v[158:159], v[128:129], v[132:133]
	v_fma_f64 v[60:61], v[124:125], s[20:21], -v[60:61]
	v_fma_f64 v[62:63], v[138:139], s[20:21], -v[62:63]
	;; [unrolled: 1-line block ×4, first 2 shown]
	v_mul_f64 v[132:133], v[142:143], s[8:9]
	v_mul_f64 v[134:135], v[156:157], s[8:9]
	v_fma_f64 v[124:125], v[124:125], s[24:25], -v[136:137]
	v_fma_f64 v[138:139], v[138:139], s[24:25], -v[144:145]
	v_fmac_f64_e32 v[136:137], s[0:1], v[126:127]
	v_fmac_f64_e32 v[144:145], s[0:1], v[146:147]
	;; [unrolled: 1-line block ×4, first 2 shown]
	v_fma_f64 v[152:153], v[64:65], s[26:27], -v[132:133]
	v_fma_f64 v[132:133], v[66:67], s[26:27], -v[134:135]
	v_add_f64 v[64:65], v[136:137], v[68:69]
	v_add_f64 v[66:67], v[144:145], v[70:71]
	v_fmac_f64_e32 v[162:163], s[2:3], v[158:159]
	v_fmac_f64_e32 v[154:155], s[2:3], v[160:161]
	v_add_f64 v[60:61], v[60:61], v[68:69]
	v_add_f64 v[62:63], v[62:63], v[70:71]
	v_fmac_f64_e32 v[164:165], s[2:3], v[158:159]
	v_fmac_f64_e32 v[166:167], s[2:3], v[160:161]
	;; [unrolled: 4-line block ×3, first 2 shown]
	v_add_f64 v[144:145], v[154:155], v[64:65]
	v_add_f64 v[146:147], v[66:67], -v[162:163]
	v_add_f64 v[136:137], v[64:65], -v[154:155]
	v_add_f64 v[138:139], v[162:163], v[66:67]
	ds_read_b128 v[64:67], v172 offset:3584
	ds_read_b128 v[68:71], v172 offset:2688
	v_add_f64 v[128:129], v[60:61], -v[166:167]
	v_add_f64 v[130:131], v[164:165], v[62:63]
	v_add_f64 v[60:61], v[166:167], v[60:61]
	v_add_f64 v[62:63], v[62:63], -v[164:165]
	v_add_f64 v[140:141], v[132:133], v[124:125]
	v_add_f64 v[142:143], v[134:135], -v[152:153]
	v_add_f64 v[132:133], v[124:125], -v[132:133]
	v_add_f64 v[134:135], v[152:153], v[134:135]
	s_waitcnt lgkmcnt(0)
	; wave barrier
	s_waitcnt lgkmcnt(0)
	ds_write_b128 v172, v[0:3]
	ds_write_b128 v172, v[28:31] offset:896
	ds_write_b128 v172, v[20:23] offset:1792
	ds_write_b128 v172, v[8:11] offset:2688
	ds_write_b128 v172, v[4:7] offset:3584
	ds_write_b128 v172, v[12:15] offset:4480
	ds_write_b128 v172, v[16:19] offset:5376
	ds_write_b128 v172, v[24:27] offset:6272
	ds_write_b128 v172, v[56:59] offset:7168
	ds_write_b128 v172, v[48:51] offset:8064
	ds_write_b128 v172, v[36:39] offset:8960
	ds_write_b128 v172, v[32:35] offset:9856
	ds_write_b128 v172, v[40:43] offset:10752
	ds_write_b128 v172, v[44:47] offset:11648
	ds_write_b128 v175, v[52:55] offset:12544
	ds_write_b128 v175, v[144:147] offset:13440
	ds_write_b128 v175, v[140:143] offset:14336
	ds_write_b128 v175, v[128:131] offset:15232
	ds_write_b128 v175, v[60:63] offset:16128
	ds_write_b128 v175, v[132:135] offset:17024
	ds_write_b128 v175, v[136:139] offset:17920
	v_add_f64 v[12:13], v[96:97], v[176:177]
	v_add_f64 v[4:5], v[100:101], v[148:149]
	;; [unrolled: 1-line block ×12, first 2 shown]
	v_add_f64 v[20:21], v[96:97], -v[176:177]
	v_add_f64 v[22:23], v[98:99], -v[178:179]
	;; [unrolled: 1-line block ×6, first 2 shown]
	v_mov_b64_e32 v[32:33], v[0:1]
	v_mov_b64_e32 v[34:35], v[2:3]
	v_fmac_f64_e32 v[32:33], s[14:15], v[6:7]
	v_fmac_f64_e32 v[34:35], s[14:15], v[10:11]
	v_add_f64 v[36:37], v[4:5], -v[12:13]
	v_add_f64 v[38:39], v[14:15], -v[4:5]
	;; [unrolled: 1-line block ×4, first 2 shown]
	v_add_f64 v[4:5], v[28:29], v[24:25]
	v_add_f64 v[6:7], v[28:29], -v[24:25]
	v_add_f64 v[24:25], v[24:25], -v[20:21]
	v_add_f64 v[8:9], v[30:31], v[26:27]
	v_add_f64 v[10:11], v[30:31], -v[26:27]
	v_add_f64 v[26:27], v[26:27], -v[22:23]
	;; [unrolled: 1-line block ×4, first 2 shown]
	v_add_f64 v[44:45], v[4:5], v[20:21]
	v_add_f64 v[46:47], v[8:9], v[22:23]
	v_mul_f64 v[48:49], v[6:7], s[18:19]
	v_mul_f64 v[50:51], v[10:11], s[18:19]
	;; [unrolled: 1-line block ×3, first 2 shown]
	v_add_f64 v[20:21], v[20:21], -v[28:29]
	v_add_f64 v[22:23], v[22:23], -v[30:31]
	v_mul_f64 v[28:29], v[12:13], s[22:23]
	v_mul_f64 v[30:31], v[14:15], s[22:23]
	v_mul_f64 v[12:13], v[24:25], s[8:9]
	v_mul_f64 v[14:15], v[26:27], s[8:9]
	v_fma_f64 v[4:5], v[36:37], s[20:21], -v[4:5]
	v_mul_f64 v[6:7], v[42:43], s[0:1]
	v_fma_f64 v[52:53], v[24:25], s[8:9], -v[48:49]
	v_fma_f64 v[54:55], v[26:27], s[8:9], -v[50:51]
	;; [unrolled: 1-line block ×7, first 2 shown]
	v_add_f64 v[8:9], v[4:5], v[32:33]
	v_fmac_f64_e32 v[54:55], s[2:3], v[46:47]
	v_add_f64 v[16:17], v[16:17], v[32:33]
	v_add_f64 v[18:19], v[18:19], v[34:35]
	v_fmac_f64_e32 v[24:25], s[2:3], v[44:45]
	v_fmac_f64_e32 v[26:27], s[2:3], v[46:47]
	;; [unrolled: 1-line block ×6, first 2 shown]
	v_add_f64 v[10:11], v[6:7], v[34:35]
	v_fmac_f64_e32 v[52:53], s[2:3], v[44:45]
	v_add_f64 v[4:5], v[8:9], -v[54:55]
	v_add_f64 v[12:13], v[26:27], v[16:17]
	v_add_f64 v[14:15], v[18:19], -v[24:25]
	v_add_f64 v[16:17], v[16:17], -v[26:27]
	v_add_f64 v[18:19], v[24:25], v[18:19]
	v_add_f64 v[24:25], v[28:29], v[32:33]
	;; [unrolled: 1-line block ×3, first 2 shown]
	v_fmac_f64_e32 v[48:49], s[2:3], v[44:45]
	v_fmac_f64_e32 v[50:51], s[2:3], v[46:47]
	v_add_f64 v[6:7], v[52:53], v[10:11]
	v_add_f64 v[8:9], v[54:55], v[8:9]
	v_add_f64 v[10:11], v[10:11], -v[52:53]
	v_add_f64 v[20:21], v[50:51], v[24:25]
	v_add_f64 v[22:23], v[26:27], -v[48:49]
	v_add_f64 v[24:25], v[24:25], -v[50:51]
	v_add_f64 v[26:27], v[48:49], v[26:27]
	ds_write_b128 v173, v[0:3] offset:18816
	ds_write_b128 v173, v[20:23] offset:19712
	;; [unrolled: 1-line block ×7, first 2 shown]
	v_add_f64 v[12:13], v[72:73], v[92:93]
	v_add_f64 v[4:5], v[76:77], v[88:89]
	;; [unrolled: 1-line block ×12, first 2 shown]
	v_add_f64 v[20:21], v[72:73], -v[92:93]
	v_add_f64 v[22:23], v[74:75], -v[94:95]
	;; [unrolled: 1-line block ×6, first 2 shown]
	v_mov_b64_e32 v[32:33], v[0:1]
	v_mov_b64_e32 v[34:35], v[2:3]
	v_fmac_f64_e32 v[32:33], s[14:15], v[6:7]
	v_fmac_f64_e32 v[34:35], s[14:15], v[10:11]
	v_add_f64 v[36:37], v[4:5], -v[12:13]
	v_add_f64 v[38:39], v[14:15], -v[4:5]
	;; [unrolled: 1-line block ×4, first 2 shown]
	v_add_f64 v[4:5], v[28:29], v[24:25]
	v_add_f64 v[6:7], v[28:29], -v[24:25]
	v_add_f64 v[24:25], v[24:25], -v[20:21]
	v_add_f64 v[8:9], v[30:31], v[26:27]
	v_add_f64 v[10:11], v[30:31], -v[26:27]
	v_add_f64 v[26:27], v[26:27], -v[22:23]
	;; [unrolled: 1-line block ×4, first 2 shown]
	v_add_f64 v[44:45], v[4:5], v[20:21]
	v_add_f64 v[46:47], v[8:9], v[22:23]
	v_mul_f64 v[48:49], v[6:7], s[18:19]
	v_mul_f64 v[50:51], v[10:11], s[18:19]
	v_add_f64 v[20:21], v[20:21], -v[28:29]
	v_add_f64 v[22:23], v[22:23], -v[30:31]
	v_mul_f64 v[28:29], v[12:13], s[22:23]
	v_mul_f64 v[30:31], v[14:15], s[22:23]
	v_mul_f64 v[12:13], v[24:25], s[8:9]
	v_mul_f64 v[14:15], v[26:27], s[8:9]
	v_fma_f64 v[52:53], v[24:25], s[8:9], -v[48:49]
	v_fma_f64 v[54:55], v[26:27], s[8:9], -v[50:51]
	;; [unrolled: 1-line block ×6, first 2 shown]
	v_mul_f64 v[4:5], v[38:39], s[0:1]
	v_mul_f64 v[6:7], v[42:43], s[0:1]
	v_add_f64 v[16:17], v[16:17], v[32:33]
	v_add_f64 v[18:19], v[18:19], v[34:35]
	v_fmac_f64_e32 v[24:25], s[2:3], v[44:45]
	v_fmac_f64_e32 v[26:27], s[2:3], v[46:47]
	v_fma_f64 v[4:5], v[36:37], s[20:21], -v[4:5]
	v_fma_f64 v[6:7], v[40:41], s[20:21], -v[6:7]
	v_add_f64 v[12:13], v[26:27], v[16:17]
	v_add_f64 v[14:15], v[18:19], -v[24:25]
	v_add_f64 v[16:17], v[16:17], -v[26:27]
	v_add_f64 v[18:19], v[24:25], v[18:19]
	v_fma_f64 v[24:25], s[0:1], v[38:39], v[28:29]
	v_fmac_f64_e32 v[30:31], s[0:1], v[42:43]
	v_fma_f64 v[26:27], s[12:13], v[20:21], v[48:49]
	v_fmac_f64_e32 v[50:51], s[12:13], v[22:23]
	v_add_f64 v[8:9], v[4:5], v[32:33]
	v_add_f64 v[10:11], v[6:7], v[34:35]
	v_fmac_f64_e32 v[52:53], s[2:3], v[44:45]
	v_fmac_f64_e32 v[54:55], s[2:3], v[46:47]
	v_add_f64 v[24:25], v[24:25], v[32:33]
	v_add_f64 v[28:29], v[30:31], v[34:35]
	v_fmac_f64_e32 v[26:27], s[2:3], v[44:45]
	v_fmac_f64_e32 v[50:51], s[2:3], v[46:47]
	v_add_f64 v[4:5], v[8:9], -v[54:55]
	v_add_f64 v[6:7], v[52:53], v[10:11]
	v_add_f64 v[8:9], v[54:55], v[8:9]
	v_add_f64 v[10:11], v[10:11], -v[52:53]
	v_add_f64 v[20:21], v[50:51], v[24:25]
	v_add_f64 v[22:23], v[28:29], -v[26:27]
	v_add_f64 v[24:25], v[24:25], -v[50:51]
	v_add_f64 v[26:27], v[26:27], v[28:29]
	ds_write_b128 v174, v[0:3] offset:25088
	ds_write_b128 v174, v[20:23] offset:25984
	;; [unrolled: 1-line block ×7, first 2 shown]
	s_waitcnt lgkmcnt(0)
	; wave barrier
	s_waitcnt lgkmcnt(0)
	ds_read_b128 v[0:3], v172 offset:6272
	v_accvgpr_read_b32 v4, a102
	v_accvgpr_read_b32 v6, a104
	;; [unrolled: 1-line block ×4, first 2 shown]
	s_waitcnt lgkmcnt(0)
	v_mul_f64 v[8:9], v[226:227], v[2:3]
	v_fmac_f64_e32 v[8:9], v[224:225], v[0:1]
	v_mul_f64 v[0:1], v[226:227], v[0:1]
	v_fma_f64 v[10:11], v[224:225], v[2:3], -v[0:1]
	ds_read_b128 v[0:3], v172 offset:12544
	s_mov_b32 s8, 0x134454ff
	s_mov_b32 s9, 0xbfee6f0e
	;; [unrolled: 1-line block ×4, first 2 shown]
	s_waitcnt lgkmcnt(0)
	v_mul_f64 v[12:13], v[6:7], v[2:3]
	v_fmac_f64_e32 v[12:13], v[4:5], v[0:1]
	v_mul_f64 v[0:1], v[6:7], v[0:1]
	v_fma_f64 v[16:17], v[4:5], v[2:3], -v[0:1]
	ds_read_b128 v[0:3], v172 offset:18816
	v_accvgpr_read_b32 v4, a98
	v_accvgpr_read_b32 v6, a100
	;; [unrolled: 1-line block ×4, first 2 shown]
	s_waitcnt lgkmcnt(0)
	v_mul_f64 v[20:21], v[6:7], v[2:3]
	v_fmac_f64_e32 v[20:21], v[4:5], v[0:1]
	v_mul_f64 v[0:1], v[6:7], v[0:1]
	v_fma_f64 v[22:23], v[4:5], v[2:3], -v[0:1]
	ds_read_b128 v[0:3], v172 offset:25088
	v_accvgpr_read_b32 v4, a106
	v_accvgpr_read_b32 v6, a108
	;; [unrolled: 1-line block ×4, first 2 shown]
	s_waitcnt lgkmcnt(0)
	v_mul_f64 v[32:33], v[230:231], v[2:3]
	v_fmac_f64_e32 v[32:33], v[228:229], v[0:1]
	v_mul_f64 v[0:1], v[230:231], v[0:1]
	v_fma_f64 v[34:35], v[228:229], v[2:3], -v[0:1]
	ds_read_b128 v[0:3], v172 offset:7168
	v_add_f64 v[84:85], v[10:11], -v[34:35]
	s_mov_b32 s14, s8
	s_mov_b32 s1, 0xbfe2cf23
	v_add_f64 v[88:89], v[16:17], -v[22:23]
	s_waitcnt lgkmcnt(0)
	v_mul_f64 v[36:37], v[6:7], v[2:3]
	v_fmac_f64_e32 v[36:37], v[4:5], v[0:1]
	v_mul_f64 v[0:1], v[6:7], v[0:1]
	v_fma_f64 v[40:41], v[4:5], v[2:3], -v[0:1]
	ds_read_b128 v[0:3], v172 offset:13440
	v_accvgpr_read_b32 v4, a118
	v_accvgpr_read_b32 v6, a120
	v_accvgpr_read_b32 v7, a121
	v_accvgpr_read_b32 v5, a119
	s_waitcnt lgkmcnt(0)
	v_mul_f64 v[52:53], v[6:7], v[2:3]
	v_fmac_f64_e32 v[52:53], v[4:5], v[0:1]
	v_mul_f64 v[0:1], v[6:7], v[0:1]
	v_fma_f64 v[54:55], v[4:5], v[2:3], -v[0:1]
	ds_read_b128 v[0:3], v172 offset:19712
	v_accvgpr_read_b32 v4, a114
	v_accvgpr_read_b32 v6, a116
	v_accvgpr_read_b32 v7, a117
	v_accvgpr_read_b32 v5, a115
	;; [unrolled: 10-line block ×16, first 2 shown]
	s_waitcnt lgkmcnt(0)
	v_mul_f64 v[78:79], v[6:7], v[2:3]
	v_fmac_f64_e32 v[78:79], v[4:5], v[0:1]
	v_mul_f64 v[0:1], v[6:7], v[0:1]
	v_fma_f64 v[82:83], v[4:5], v[2:3], -v[0:1]
	ds_read_b128 v[0:3], v172 offset:17024
	ds_read_b128 v[4:7], v172
	s_mov_b32 s2, 0x372fe950
	s_mov_b32 s13, 0x3fe2cf23
	;; [unrolled: 1-line block ×3, first 2 shown]
	s_waitcnt lgkmcnt(1)
	v_mul_f64 v[124:125], v[114:115], v[2:3]
	v_fmac_f64_e32 v[124:125], v[112:113], v[0:1]
	v_mul_f64 v[0:1], v[114:115], v[0:1]
	v_fma_f64 v[108:109], v[112:113], v[2:3], -v[0:1]
	ds_read_b128 v[0:3], v172 offset:23296
	s_mov_b32 s3, 0x3fd3c6ef
	s_waitcnt lgkmcnt(0)
	v_mul_f64 v[114:115], v[118:119], v[2:3]
	v_fmac_f64_e32 v[114:115], v[116:117], v[0:1]
	v_mul_f64 v[0:1], v[118:119], v[0:1]
	v_fma_f64 v[110:111], v[116:117], v[2:3], -v[0:1]
	ds_read_b128 v[0:3], v172 offset:29568
	v_add_f64 v[118:119], v[8:9], -v[32:33]
	s_waitcnt lgkmcnt(0)
	v_mul_f64 v[116:117], v[122:123], v[2:3]
	v_fmac_f64_e32 v[116:117], v[120:121], v[0:1]
	v_mul_f64 v[0:1], v[122:123], v[0:1]
	v_fma_f64 v[112:113], v[120:121], v[2:3], -v[0:1]
	ds_read_b128 v[0:3], v172 offset:11648
	v_add_f64 v[120:121], v[12:13], -v[20:21]
	s_waitcnt lgkmcnt(0)
	v_mul_f64 v[98:99], v[186:187], v[2:3]
	v_fmac_f64_e32 v[98:99], v[184:185], v[0:1]
	v_mul_f64 v[0:1], v[186:187], v[0:1]
	v_fma_f64 v[92:93], v[184:185], v[2:3], -v[0:1]
	ds_read_b128 v[0:3], v172 offset:17920
	s_waitcnt lgkmcnt(0)
	v_mul_f64 v[100:101], v[190:191], v[2:3]
	v_fmac_f64_e32 v[100:101], v[188:189], v[0:1]
	v_mul_f64 v[0:1], v[190:191], v[0:1]
	v_fma_f64 v[94:95], v[188:189], v[2:3], -v[0:1]
	ds_read_b128 v[0:3], v172 offset:24192
	;; [unrolled: 6-line block ×3, first 2 shown]
	s_waitcnt lgkmcnt(0)
	v_mul_f64 v[106:107], v[198:199], v[2:3]
	v_fmac_f64_e32 v[106:107], v[196:197], v[0:1]
	v_mul_f64 v[0:1], v[198:199], v[0:1]
	v_fma_f64 v[102:103], v[196:197], v[2:3], -v[0:1]
	v_add_f64 v[0:1], v[4:5], v[8:9]
	v_add_f64 v[2:3], v[6:7], v[10:11]
	;; [unrolled: 1-line block ×8, first 2 shown]
	ds_write_b128 v172, v[0:3]
	v_add_f64 v[0:1], v[8:9], -v[12:13]
	v_add_f64 v[2:3], v[32:33], -v[20:21]
	v_add_f64 v[72:73], v[0:1], v[2:3]
	v_add_f64 v[0:1], v[12:13], v[20:21]
	v_fma_f64 v[28:29], -0.5, v[0:1], v[4:5]
	v_add_f64 v[0:1], v[16:17], v[22:23]
	v_fma_f64 v[30:31], -0.5, v[0:1], v[6:7]
	v_add_f64 v[0:1], v[10:11], -v[16:17]
	v_add_f64 v[2:3], v[34:35], -v[22:23]
	v_add_f64 v[74:75], v[0:1], v[2:3]
	v_fma_f64 v[0:1], s[8:9], v[84:85], v[28:29]
	v_fma_f64 v[2:3], s[14:15], v[118:119], v[30:31]
	v_fmac_f64_e32 v[0:1], s[0:1], v[88:89]
	v_fmac_f64_e32 v[2:3], s[12:13], v[120:121]
	;; [unrolled: 1-line block ×4, first 2 shown]
	ds_write_b128 v172, v[0:3] offset:6272
	v_add_f64 v[0:1], v[8:9], v[32:33]
	v_fmac_f64_e32 v[4:5], -0.5, v[0:1]
	v_add_f64 v[0:1], v[12:13], -v[8:9]
	v_add_f64 v[2:3], v[20:21], -v[32:33]
	v_add_f64 v[2:3], v[0:1], v[2:3]
	v_fma_f64 v[0:1], s[14:15], v[88:89], v[4:5]
	v_fmac_f64_e32 v[4:5], s[8:9], v[88:89]
	v_fmac_f64_e32 v[0:1], s[0:1], v[84:85]
	;; [unrolled: 1-line block ×5, first 2 shown]
	v_add_f64 v[2:3], v[10:11], v[34:35]
	v_fmac_f64_e32 v[6:7], -0.5, v[2:3]
	v_add_f64 v[2:3], v[16:17], -v[10:11]
	v_add_f64 v[8:9], v[22:23], -v[34:35]
	ds_read_b128 v[20:23], v172 offset:896
	v_add_f64 v[8:9], v[2:3], v[8:9]
	v_fma_f64 v[2:3], s[8:9], v[120:121], v[6:7]
	v_fmac_f64_e32 v[28:29], s[14:15], v[84:85]
	v_fmac_f64_e32 v[30:31], s[8:9], v[118:119]
	;; [unrolled: 1-line block ×10, first 2 shown]
	ds_write_b128 v172, v[0:3] offset:12544
	v_add_f64 v[0:1], v[52:53], v[86:87]
	v_fmac_f64_e32 v[6:7], s[2:3], v[8:9]
	v_add_f64 v[8:9], v[36:37], -v[52:53]
	v_add_f64 v[10:11], v[126:127], -v[86:87]
	v_add_f64 v[2:3], v[40:41], -v[128:129]
	ds_write_b128 v172, v[28:31] offset:25088
	ds_read_b128 v[28:31], v172 offset:2688
	s_waitcnt lgkmcnt(3)
	v_fma_f64 v[0:1], -0.5, v[0:1], v[20:21]
	v_add_f64 v[8:9], v[8:9], v[10:11]
	v_add_f64 v[10:11], v[54:55], -v[90:91]
	v_fma_f64 v[84:85], s[8:9], v[2:3], v[0:1]
	v_fmac_f64_e32 v[0:1], s[14:15], v[2:3]
	v_fmac_f64_e32 v[84:85], s[0:1], v[10:11]
	;; [unrolled: 1-line block ×3, first 2 shown]
	v_add_f64 v[12:13], v[36:37], v[126:127]
	v_fmac_f64_e32 v[84:85], s[2:3], v[8:9]
	v_fmac_f64_e32 v[0:1], s[2:3], v[8:9]
	v_add_f64 v[8:9], v[20:21], v[36:37]
	v_fmac_f64_e32 v[20:21], -0.5, v[12:13]
	v_fma_f64 v[88:89], s[14:15], v[10:11], v[20:21]
	v_fmac_f64_e32 v[20:21], s[8:9], v[10:11]
	v_fmac_f64_e32 v[88:89], s[0:1], v[2:3]
	;; [unrolled: 1-line block ×3, first 2 shown]
	v_add_f64 v[2:3], v[8:9], v[52:53]
	v_add_f64 v[8:9], v[22:23], v[40:41]
	;; [unrolled: 1-line block ×4, first 2 shown]
	v_add_f64 v[12:13], v[52:53], -v[36:37]
	v_add_f64 v[16:17], v[86:87], -v[126:127]
	v_add_f64 v[8:9], v[8:9], v[90:91]
	v_add_f64 v[72:73], v[2:3], v[126:127]
	;; [unrolled: 1-line block ×5, first 2 shown]
	v_fma_f64 v[2:3], -0.5, v[2:3], v[22:23]
	v_add_f64 v[8:9], v[36:37], -v[126:127]
	v_fmac_f64_e32 v[88:89], s[2:3], v[12:13]
	v_fmac_f64_e32 v[20:21], s[2:3], v[12:13]
	v_add_f64 v[10:11], v[52:53], -v[86:87]
	v_add_f64 v[12:13], v[40:41], -v[54:55]
	;; [unrolled: 1-line block ×3, first 2 shown]
	v_fma_f64 v[86:87], s[14:15], v[8:9], v[2:3]
	v_fmac_f64_e32 v[2:3], s[8:9], v[8:9]
	v_add_f64 v[12:13], v[12:13], v[16:17]
	v_fmac_f64_e32 v[86:87], s[12:13], v[10:11]
	v_fmac_f64_e32 v[2:3], s[0:1], v[10:11]
	;; [unrolled: 1-line block ×4, first 2 shown]
	v_add_f64 v[12:13], v[40:41], v[128:129]
	v_fmac_f64_e32 v[22:23], -0.5, v[12:13]
	v_add_f64 v[16:17], v[90:91], -v[128:129]
	v_fma_f64 v[90:91], s[8:9], v[10:11], v[22:23]
	v_fmac_f64_e32 v[22:23], s[14:15], v[10:11]
	v_add_f64 v[12:13], v[54:55], -v[40:41]
	v_fmac_f64_e32 v[90:91], s[12:13], v[8:9]
	v_fmac_f64_e32 v[22:23], s[0:1], v[8:9]
	v_add_f64 v[8:9], v[14:15], -v[130:131]
	v_add_f64 v[10:11], v[134:135], -v[132:133]
	v_add_f64 v[12:13], v[12:13], v[16:17]
	v_add_f64 v[16:17], v[8:9], v[10:11]
	ds_read_b128 v[8:11], v172 offset:1792
	v_fmac_f64_e32 v[90:91], s[2:3], v[12:13]
	ds_write_b128 v172, v[4:7] offset:18816
	v_add_f64 v[4:5], v[130:131], v[132:133]
	v_add_f64 v[6:7], v[18:19], -v[136:137]
	ds_write_b128 v172, v[88:91] offset:13440
	ds_read_b128 v[88:91], v172 offset:5376
	s_waitcnt lgkmcnt(3)
	v_fma_f64 v[4:5], -0.5, v[4:5], v[8:9]
	v_fmac_f64_e32 v[22:23], s[2:3], v[12:13]
	v_add_f64 v[32:33], v[24:25], -v[26:27]
	v_fma_f64 v[12:13], s[8:9], v[6:7], v[4:5]
	v_fmac_f64_e32 v[4:5], s[14:15], v[6:7]
	v_fmac_f64_e32 v[12:13], s[0:1], v[32:33]
	;; [unrolled: 1-line block ×5, first 2 shown]
	v_add_f64 v[16:17], v[14:15], v[134:135]
	v_add_f64 v[34:35], v[8:9], v[14:15]
	v_fmac_f64_e32 v[8:9], -0.5, v[16:17]
	v_add_f64 v[16:17], v[130:131], -v[14:15]
	v_add_f64 v[36:37], v[132:133], -v[134:135]
	v_add_f64 v[36:37], v[16:17], v[36:37]
	v_fma_f64 v[16:17], s[14:15], v[32:33], v[8:9]
	v_fmac_f64_e32 v[8:9], s[8:9], v[32:33]
	v_fmac_f64_e32 v[16:17], s[0:1], v[6:7]
	;; [unrolled: 1-line block ×3, first 2 shown]
	v_add_f64 v[6:7], v[34:35], v[130:131]
	v_add_f64 v[32:33], v[10:11], v[18:19]
	v_add_f64 v[6:7], v[6:7], v[132:133]
	v_add_f64 v[32:33], v[32:33], v[24:25]
	v_add_f64 v[34:35], v[32:33], v[26:27]
	v_add_f64 v[32:33], v[6:7], v[134:135]
	v_add_f64 v[6:7], v[24:25], v[26:27]
	v_fmac_f64_e32 v[16:17], s[2:3], v[36:37]
	v_fmac_f64_e32 v[8:9], s[2:3], v[36:37]
	v_fma_f64 v[6:7], -0.5, v[6:7], v[10:11]
	v_add_f64 v[36:37], v[14:15], -v[134:135]
	v_add_f64 v[14:15], v[18:19], -v[24:25]
	;; [unrolled: 1-line block ×4, first 2 shown]
	v_add_f64 v[52:53], v[14:15], v[52:53]
	v_fma_f64 v[14:15], s[14:15], v[36:37], v[6:7]
	v_fmac_f64_e32 v[6:7], s[8:9], v[36:37]
	v_fmac_f64_e32 v[14:15], s[12:13], v[40:41]
	v_fmac_f64_e32 v[6:7], s[0:1], v[40:41]
	v_fmac_f64_e32 v[14:15], s[2:3], v[52:53]
	v_fmac_f64_e32 v[6:7], s[2:3], v[52:53]
	v_add_f64 v[52:53], v[18:19], v[136:137]
	v_fmac_f64_e32 v[10:11], -0.5, v[52:53]
	v_add_f64 v[18:19], v[24:25], -v[18:19]
	v_add_f64 v[24:25], v[26:27], -v[136:137]
	v_add_f64 v[24:25], v[18:19], v[24:25]
	v_fma_f64 v[18:19], s[8:9], v[40:41], v[10:11]
	v_fmac_f64_e32 v[10:11], s[14:15], v[40:41]
	v_fmac_f64_e32 v[18:19], s[12:13], v[36:37]
	;; [unrolled: 1-line block ×5, first 2 shown]
	v_add_f64 v[24:25], v[38:39], -v[48:49]
	v_add_f64 v[26:27], v[60:61], -v[56:57]
	v_add_f64 v[26:27], v[24:25], v[26:27]
	v_add_f64 v[24:25], v[48:49], v[56:57]
	v_fma_f64 v[24:25], -0.5, v[24:25], v[28:29]
	v_add_f64 v[52:53], v[42:43], -v[50:51]
	v_add_f64 v[54:55], v[44:45], -v[46:47]
	v_fma_f64 v[36:37], s[8:9], v[52:53], v[24:25]
	v_fmac_f64_e32 v[24:25], s[14:15], v[52:53]
	v_fmac_f64_e32 v[36:37], s[0:1], v[54:55]
	;; [unrolled: 1-line block ×3, first 2 shown]
	v_add_f64 v[40:41], v[38:39], v[60:61]
	v_fmac_f64_e32 v[36:37], s[2:3], v[26:27]
	v_fmac_f64_e32 v[24:25], s[2:3], v[26:27]
	v_add_f64 v[26:27], v[28:29], v[38:39]
	v_fmac_f64_e32 v[28:29], -0.5, v[40:41]
	v_add_f64 v[40:41], v[48:49], -v[38:39]
	v_add_f64 v[118:119], v[56:57], -v[60:61]
	v_add_f64 v[118:119], v[40:41], v[118:119]
	v_fma_f64 v[40:41], s[14:15], v[54:55], v[28:29]
	v_fmac_f64_e32 v[28:29], s[8:9], v[54:55]
	v_fmac_f64_e32 v[40:41], s[0:1], v[52:53]
	;; [unrolled: 1-line block ×3, first 2 shown]
	v_add_f64 v[26:27], v[26:27], v[48:49]
	v_add_f64 v[52:53], v[30:31], v[42:43]
	;; [unrolled: 1-line block ×7, first 2 shown]
	v_fma_f64 v[26:27], -0.5, v[26:27], v[30:31]
	v_add_f64 v[60:61], v[38:39], -v[60:61]
	v_add_f64 v[48:49], v[48:49], -v[56:57]
	;; [unrolled: 1-line block ×4, first 2 shown]
	v_add_f64 v[56:57], v[38:39], v[56:57]
	v_fma_f64 v[38:39], s[14:15], v[60:61], v[26:27]
	v_fmac_f64_e32 v[26:27], s[8:9], v[60:61]
	v_fmac_f64_e32 v[38:39], s[12:13], v[48:49]
	v_fmac_f64_e32 v[26:27], s[0:1], v[48:49]
	v_fmac_f64_e32 v[38:39], s[2:3], v[56:57]
	v_fmac_f64_e32 v[26:27], s[2:3], v[56:57]
	v_add_f64 v[56:57], v[42:43], v[50:51]
	v_fmac_f64_e32 v[30:31], -0.5, v[56:57]
	v_add_f64 v[42:43], v[44:45], -v[42:43]
	v_add_f64 v[44:45], v[46:47], -v[50:51]
	v_add_f64 v[54:55], v[54:55], v[50:51]
	v_add_f64 v[44:45], v[42:43], v[44:45]
	v_fma_f64 v[42:43], s[8:9], v[48:49], v[30:31]
	v_fmac_f64_e32 v[30:31], s[14:15], v[48:49]
	ds_read_b128 v[48:51], v172 offset:3584
	v_fmac_f64_e32 v[42:43], s[12:13], v[60:61]
	v_fmac_f64_e32 v[30:31], s[0:1], v[60:61]
	;; [unrolled: 1-line block ×4, first 2 shown]
	v_add_f64 v[44:45], v[58:59], -v[68:69]
	v_add_f64 v[46:47], v[80:81], -v[76:77]
	v_add_f64 v[46:47], v[44:45], v[46:47]
	v_add_f64 v[44:45], v[68:69], v[76:77]
	ds_write_b128 v172, v[72:75] offset:896
	s_waitcnt lgkmcnt(1)
	v_fma_f64 v[44:45], -0.5, v[44:45], v[48:49]
	v_add_f64 v[72:73], v[62:63], -v[70:71]
	v_add_f64 v[74:75], v[64:65], -v[66:67]
	v_fma_f64 v[56:57], s[8:9], v[72:73], v[44:45]
	v_fmac_f64_e32 v[44:45], s[14:15], v[72:73]
	v_fmac_f64_e32 v[56:57], s[0:1], v[74:75]
	;; [unrolled: 1-line block ×3, first 2 shown]
	v_add_f64 v[60:61], v[58:59], v[80:81]
	v_fmac_f64_e32 v[40:41], s[2:3], v[118:119]
	v_fmac_f64_e32 v[28:29], s[2:3], v[118:119]
	;; [unrolled: 1-line block ×4, first 2 shown]
	v_add_f64 v[46:47], v[48:49], v[58:59]
	v_fmac_f64_e32 v[48:49], -0.5, v[60:61]
	v_add_f64 v[60:61], v[68:69], -v[58:59]
	v_add_f64 v[118:119], v[76:77], -v[80:81]
	v_add_f64 v[118:119], v[60:61], v[118:119]
	v_fma_f64 v[60:61], s[14:15], v[74:75], v[48:49]
	v_fmac_f64_e32 v[48:49], s[8:9], v[74:75]
	v_fmac_f64_e32 v[60:61], s[0:1], v[72:73]
	v_fmac_f64_e32 v[48:49], s[12:13], v[72:73]
	v_add_f64 v[46:47], v[46:47], v[68:69]
	v_add_f64 v[72:73], v[50:51], v[62:63]
	;; [unrolled: 1-line block ×7, first 2 shown]
	v_fma_f64 v[46:47], -0.5, v[46:47], v[50:51]
	v_add_f64 v[80:81], v[58:59], -v[80:81]
	v_add_f64 v[68:69], v[68:69], -v[76:77]
	;; [unrolled: 1-line block ×4, first 2 shown]
	v_add_f64 v[76:77], v[58:59], v[76:77]
	v_fma_f64 v[58:59], s[14:15], v[80:81], v[46:47]
	v_fmac_f64_e32 v[46:47], s[8:9], v[80:81]
	v_fmac_f64_e32 v[58:59], s[12:13], v[68:69]
	;; [unrolled: 1-line block ×5, first 2 shown]
	v_add_f64 v[76:77], v[62:63], v[70:71]
	v_fmac_f64_e32 v[50:51], -0.5, v[76:77]
	v_add_f64 v[62:63], v[64:65], -v[62:63]
	v_add_f64 v[64:65], v[66:67], -v[70:71]
	v_add_f64 v[74:75], v[74:75], v[70:71]
	v_add_f64 v[64:65], v[62:63], v[64:65]
	v_fma_f64 v[62:63], s[8:9], v[68:69], v[50:51]
	v_fmac_f64_e32 v[50:51], s[14:15], v[68:69]
	ds_read_b128 v[68:71], v172 offset:4480
	v_fmac_f64_e32 v[62:63], s[12:13], v[80:81]
	v_fmac_f64_e32 v[50:51], s[0:1], v[80:81]
	;; [unrolled: 1-line block ×4, first 2 shown]
	v_add_f64 v[64:65], v[78:79], -v[124:125]
	v_add_f64 v[66:67], v[116:117], -v[114:115]
	v_add_f64 v[66:67], v[64:65], v[66:67]
	v_add_f64 v[64:65], v[124:125], v[114:115]
	ds_write_b128 v172, v[84:87] offset:7168
	s_waitcnt lgkmcnt(1)
	v_fma_f64 v[64:65], -0.5, v[64:65], v[68:69]
	v_add_f64 v[84:85], v[82:83], -v[112:113]
	v_add_f64 v[86:87], v[108:109], -v[110:111]
	v_fma_f64 v[76:77], s[8:9], v[84:85], v[64:65]
	v_fmac_f64_e32 v[64:65], s[14:15], v[84:85]
	v_fmac_f64_e32 v[76:77], s[0:1], v[86:87]
	;; [unrolled: 1-line block ×3, first 2 shown]
	v_add_f64 v[80:81], v[78:79], v[116:117]
	v_fmac_f64_e32 v[60:61], s[2:3], v[118:119]
	v_fmac_f64_e32 v[48:49], s[2:3], v[118:119]
	;; [unrolled: 1-line block ×4, first 2 shown]
	v_add_f64 v[66:67], v[68:69], v[78:79]
	v_fmac_f64_e32 v[68:69], -0.5, v[80:81]
	v_add_f64 v[80:81], v[124:125], -v[78:79]
	v_add_f64 v[118:119], v[114:115], -v[116:117]
	v_add_f64 v[118:119], v[80:81], v[118:119]
	v_fma_f64 v[80:81], s[14:15], v[86:87], v[68:69]
	v_fmac_f64_e32 v[68:69], s[8:9], v[86:87]
	v_fmac_f64_e32 v[80:81], s[0:1], v[84:85]
	;; [unrolled: 1-line block ×3, first 2 shown]
	v_add_f64 v[66:67], v[66:67], v[124:125]
	v_add_f64 v[84:85], v[70:71], v[82:83]
	;; [unrolled: 1-line block ×7, first 2 shown]
	v_fmac_f64_e32 v[80:81], s[2:3], v[118:119]
	v_fmac_f64_e32 v[68:69], s[2:3], v[118:119]
	v_fma_f64 v[66:67], -0.5, v[66:67], v[70:71]
	v_add_f64 v[116:117], v[78:79], -v[116:117]
	v_add_f64 v[78:79], v[82:83], -v[108:109]
	;; [unrolled: 1-line block ×4, first 2 shown]
	v_add_f64 v[118:119], v[78:79], v[118:119]
	v_fma_f64 v[78:79], s[14:15], v[116:117], v[66:67]
	v_fmac_f64_e32 v[66:67], s[8:9], v[116:117]
	v_fmac_f64_e32 v[78:79], s[12:13], v[114:115]
	;; [unrolled: 1-line block ×5, first 2 shown]
	v_add_f64 v[118:119], v[82:83], v[112:113]
	v_fmac_f64_e32 v[70:71], -0.5, v[118:119]
	v_add_f64 v[82:83], v[108:109], -v[82:83]
	v_add_f64 v[108:109], v[110:111], -v[112:113]
	v_add_f64 v[108:109], v[82:83], v[108:109]
	v_fma_f64 v[82:83], s[8:9], v[114:115], v[70:71]
	v_fmac_f64_e32 v[70:71], s[14:15], v[114:115]
	v_fmac_f64_e32 v[82:83], s[12:13], v[116:117]
	;; [unrolled: 1-line block ×5, first 2 shown]
	v_add_f64 v[108:109], v[100:101], v[104:105]
	ds_write_b128 v172, v[20:23] offset:19712
	v_add_f64 v[20:21], v[98:99], -v[100:101]
	v_add_f64 v[22:23], v[106:107], -v[104:105]
	v_add_f64 v[20:21], v[20:21], v[22:23]
	v_fma_f64 v[108:109], -0.5, v[108:109], v[88:89]
	v_add_f64 v[22:23], v[92:93], -v[102:103]
	v_add_f64 v[86:87], v[86:87], v[112:113]
	v_add_f64 v[110:111], v[94:95], -v[96:97]
	v_fma_f64 v[112:113], s[8:9], v[22:23], v[108:109]
	v_fmac_f64_e32 v[108:109], s[14:15], v[22:23]
	v_fmac_f64_e32 v[112:113], s[0:1], v[110:111]
	;; [unrolled: 1-line block ×3, first 2 shown]
	v_add_f64 v[114:115], v[98:99], v[106:107]
	v_fmac_f64_e32 v[112:113], s[2:3], v[20:21]
	v_fmac_f64_e32 v[108:109], s[2:3], v[20:21]
	v_add_f64 v[20:21], v[88:89], v[98:99]
	v_fmac_f64_e32 v[88:89], -0.5, v[114:115]
	v_add_f64 v[114:115], v[100:101], -v[98:99]
	v_add_f64 v[116:117], v[104:105], -v[106:107]
	v_add_f64 v[114:115], v[114:115], v[116:117]
	v_fma_f64 v[116:117], s[14:15], v[110:111], v[88:89]
	v_fmac_f64_e32 v[88:89], s[8:9], v[110:111]
	v_fmac_f64_e32 v[116:117], s[0:1], v[22:23]
	;; [unrolled: 1-line block ×3, first 2 shown]
	v_add_f64 v[20:21], v[20:21], v[100:101]
	v_add_f64 v[22:23], v[90:91], v[92:93]
	;; [unrolled: 1-line block ×8, first 2 shown]
	v_fma_f64 v[110:111], -0.5, v[20:21], v[90:91]
	v_add_f64 v[22:23], v[98:99], -v[106:107]
	v_fmac_f64_e32 v[116:117], s[2:3], v[114:115]
	v_fmac_f64_e32 v[88:89], s[2:3], v[114:115]
	v_add_f64 v[20:21], v[100:101], -v[104:105]
	v_add_f64 v[98:99], v[92:93], -v[94:95]
	;; [unrolled: 1-line block ×3, first 2 shown]
	v_fma_f64 v[114:115], s[14:15], v[22:23], v[110:111]
	v_fmac_f64_e32 v[110:111], s[8:9], v[22:23]
	v_add_f64 v[98:99], v[98:99], v[100:101]
	v_fmac_f64_e32 v[114:115], s[12:13], v[20:21]
	v_fmac_f64_e32 v[110:111], s[0:1], v[20:21]
	;; [unrolled: 1-line block ×4, first 2 shown]
	v_add_f64 v[98:99], v[92:93], v[102:103]
	v_fmac_f64_e32 v[90:91], -0.5, v[98:99]
	v_add_f64 v[92:93], v[94:95], -v[92:93]
	v_add_f64 v[94:95], v[96:97], -v[102:103]
	v_fma_f64 v[118:119], s[8:9], v[20:21], v[90:91]
	v_fmac_f64_e32 v[90:91], s[14:15], v[20:21]
	v_add_f64 v[92:93], v[92:93], v[94:95]
	v_fmac_f64_e32 v[118:119], s[12:13], v[22:23]
	v_fmac_f64_e32 v[90:91], s[0:1], v[22:23]
	v_add_f64 v[34:35], v[34:35], v[136:137]
	v_fmac_f64_e32 v[118:119], s[2:3], v[92:93]
	v_fmac_f64_e32 v[90:91], s[2:3], v[92:93]
	ds_write_b128 v172, v[0:3] offset:25984
	ds_write_b128 v172, v[32:35] offset:1792
	ds_write_b128 v172, v[12:15] offset:8064
	ds_write_b128 v172, v[16:19] offset:14336
	ds_write_b128 v172, v[8:11] offset:20608
	ds_write_b128 v172, v[4:7] offset:26880
	ds_write_b128 v172, v[52:55] offset:2688
	ds_write_b128 v172, v[36:39] offset:8960
	ds_write_b128 v172, v[40:43] offset:15232
	ds_write_b128 v172, v[28:31] offset:21504
	ds_write_b128 v172, v[24:27] offset:27776
	ds_write_b128 v172, v[72:75] offset:3584
	ds_write_b128 v172, v[56:59] offset:9856
	ds_write_b128 v172, v[60:63] offset:16128
	ds_write_b128 v172, v[48:51] offset:22400
	ds_write_b128 v172, v[44:47] offset:28672
	ds_write_b128 v172, v[84:87] offset:4480
	ds_write_b128 v172, v[76:79] offset:10752
	ds_write_b128 v172, v[80:83] offset:17024
	ds_write_b128 v172, v[68:71] offset:23296
	ds_write_b128 v172, v[64:67] offset:29568
	ds_write_b128 v172, v[120:123] offset:5376
	ds_write_b128 v172, v[112:115] offset:11648
	ds_write_b128 v172, v[116:119] offset:17920
	ds_write_b128 v172, v[88:91] offset:24192
	ds_write_b128 v172, v[108:111] offset:30464
	s_waitcnt lgkmcnt(0)
	; wave barrier
	s_waitcnt lgkmcnt(0)
	scratch_load_dwordx4 v[10:13], off, off offset:240 ; 16-byte Folded Reload
	scratch_load_dwordx4 v[26:29], off, off offset:576 ; 16-byte Folded Reload
	ds_read_b128 v[0:3], v172
	v_accvgpr_read_b32 v94, a58
	v_mad_u64_u32 v[22:23], s[0:1], s6, v94, 0
	v_mov_b32_e32 v92, v23
	v_mad_u64_u32 v[4:5], s[0:1], s7, v94, v[92:93]
	v_mov_b32_e32 v23, v4
	ds_read_b128 v[4:7], v172 offset:896
	s_mov_b32 s0, 0xec259dc8
	s_mov_b32 s1, 0x3f40b7e6
	scratch_load_dwordx4 v[30:33], off, off offset:384 ; 16-byte Folded Reload
	v_mov_b32_e32 v20, s10
	v_mov_b32_e32 v21, s11
	s_waitcnt vmcnt(2) lgkmcnt(1)
	v_mul_f64 v[8:9], v[12:13], v[2:3]
	v_fmac_f64_e32 v[8:9], v[10:11], v[0:1]
	v_mul_f64 v[0:1], v[12:13], v[0:1]
	v_fma_f64 v[0:1], v[10:11], v[2:3], -v[0:1]
	v_mul_f64 v[10:11], v[0:1], s[0:1]
	scratch_load_dwordx2 v[0:1], off, off   ; 8-byte Folded Reload
	v_mul_f64 v[8:9], v[8:9], s[0:1]
	s_waitcnt vmcnt(0)
	v_mov_b32_e32 v12, v0
	v_mad_u64_u32 v[2:3], s[2:3], s4, v12, 0
	v_mov_b32_e32 v0, v3
	v_mad_u64_u32 v[0:1], s[2:3], s5, v12, v[0:1]
	v_mov_b32_e32 v3, v0
	v_lshl_add_u64 v[0:1], v[22:23], 4, v[20:21]
	scratch_load_dwordx4 v[22:25], off, off offset:592 ; 16-byte Folded Reload
	ds_read_b128 v[12:15], v172 offset:7840
	v_accvgpr_read_b32 v21, a13
	v_lshl_add_u64 v[2:3], v[2:3], 4, v[0:1]
	v_accvgpr_read_b32 v20, a12
	global_store_dwordx4 v[2:3], v[8:11], off
	ds_read_b128 v[8:11], v172 offset:8736
	v_accvgpr_read_b32 v19, a11
	v_accvgpr_read_b32 v18, a10
	s_waitcnt lgkmcnt(1)
	v_mul_f64 v[16:17], v[20:21], v[14:15]
	v_fmac_f64_e32 v[16:17], v[18:19], v[12:13]
	v_mul_f64 v[12:13], v[20:21], v[12:13]
	v_fma_f64 v[12:13], v[18:19], v[14:15], -v[12:13]
	v_mul_f64 v[18:19], v[12:13], s[0:1]
	ds_read_b128 v[12:15], v172 offset:15680
	s_mul_i32 s2, s5, 0x1ea
	s_mul_hi_u32 s3, s4, 0x1ea
	s_add_i32 s3, s3, s2
	s_mul_i32 s2, s4, 0x1ea
	s_lshl_b64 s[2:3], s[2:3], 4
	v_mul_f64 v[16:17], v[16:17], s[0:1]
	v_lshl_add_u64 v[2:3], v[2:3], 0, s[2:3]
	global_store_dwordx4 v[2:3], v[16:19], off
	ds_read_b128 v[16:19], v172 offset:16576
	v_lshl_add_u64 v[2:3], v[2:3], 0, s[2:3]
	s_waitcnt vmcnt(2) lgkmcnt(1)
	v_mul_f64 v[20:21], v[24:25], v[14:15]
	v_fmac_f64_e32 v[20:21], v[22:23], v[12:13]
	v_mul_f64 v[12:13], v[24:25], v[12:13]
	v_fma_f64 v[22:23], v[22:23], v[14:15], -v[12:13]
	ds_read_b128 v[12:15], v172 offset:23520
	v_mul_f64 v[20:21], v[20:21], s[0:1]
	v_mul_f64 v[22:23], v[22:23], s[0:1]
	global_store_dwordx4 v[2:3], v[20:23], off
	ds_read_b128 v[20:23], v172 offset:24416
	s_waitcnt lgkmcnt(1)
	v_mul_f64 v[24:25], v[28:29], v[14:15]
	v_fmac_f64_e32 v[24:25], v[26:27], v[12:13]
	v_mul_f64 v[12:13], v[28:29], v[12:13]
	v_fma_f64 v[12:13], v[26:27], v[14:15], -v[12:13]
	v_mul_f64 v[24:25], v[24:25], s[0:1]
	v_mul_f64 v[26:27], v[12:13], s[0:1]
	v_lshl_add_u64 v[28:29], v[2:3], 0, s[2:3]
	global_store_dwordx4 v[28:29], v[24:27], off
	scratch_load_dwordx4 v[24:27], off, off offset:560 ; 16-byte Folded Reload
	s_waitcnt vmcnt(0)
	v_mul_f64 v[2:3], v[26:27], v[6:7]
	v_fmac_f64_e32 v[2:3], v[24:25], v[4:5]
	v_mul_f64 v[12:13], v[2:3], s[0:1]
	v_mul_f64 v[2:3], v[26:27], v[4:5]
	v_fma_f64 v[2:3], v[24:25], v[6:7], -v[2:3]
	v_mul_f64 v[14:15], v[2:3], s[0:1]
	v_mov_b32_e32 v2, 0xffffa7a0
	v_mad_u64_u32 v[24:25], s[6:7], s4, v2, v[28:29]
	s_mul_i32 s6, s5, 0xffffa7a0
	s_sub_i32 s6, s6, s4
	v_add_u32_e32 v25, s6, v25
	global_store_dwordx4 v[24:25], v[12:15], off
	scratch_load_dwordx4 v[12:15], off, off offset:544 ; 16-byte Folded Reload
	s_waitcnt vmcnt(0)
	v_mul_f64 v[4:5], v[14:15], v[10:11]
	v_mul_f64 v[6:7], v[14:15], v[8:9]
	v_fmac_f64_e32 v[4:5], v[12:13], v[8:9]
	v_fma_f64 v[6:7], v[12:13], v[10:11], -v[6:7]
	scratch_load_dwordx4 v[10:13], off, off offset:528 ; 16-byte Folded Reload
	v_mul_f64 v[4:5], v[4:5], s[0:1]
	v_mul_f64 v[6:7], v[6:7], s[0:1]
	v_lshl_add_u64 v[8:9], v[24:25], 0, s[2:3]
	global_store_dwordx4 v[8:9], v[4:7], off
	scratch_load_dwordx4 v[26:29], off, off offset:416 ; 16-byte Folded Reload
	s_waitcnt vmcnt(2)
	v_mul_f64 v[4:5], v[12:13], v[18:19]
	v_mul_f64 v[6:7], v[12:13], v[16:17]
	v_fmac_f64_e32 v[4:5], v[10:11], v[16:17]
	v_fma_f64 v[6:7], v[10:11], v[18:19], -v[6:7]
	v_lshl_add_u64 v[12:13], v[8:9], 0, s[2:3]
	scratch_load_dwordx4 v[8:11], off, off offset:512 ; 16-byte Folded Reload
	v_mul_f64 v[4:5], v[4:5], s[0:1]
	v_mul_f64 v[6:7], v[6:7], s[0:1]
	global_store_dwordx4 v[12:13], v[4:7], off
	v_lshl_add_u64 v[16:17], v[12:13], 0, s[2:3]
	s_waitcnt vmcnt(1) lgkmcnt(0)
	v_mul_f64 v[4:5], v[10:11], v[22:23]
	v_fmac_f64_e32 v[4:5], v[8:9], v[20:21]
	v_mul_f64 v[6:7], v[10:11], v[20:21]
	scratch_load_dwordx4 v[18:21], off, off offset:480 ; 16-byte Folded Reload
	v_fma_f64 v[6:7], v[8:9], v[22:23], -v[6:7]
	scratch_load_dwordx4 v[22:25], off, off offset:464 ; 16-byte Folded Reload
	ds_read_b128 v[8:11], v172 offset:1792
	v_mul_f64 v[4:5], v[4:5], s[0:1]
	v_mul_f64 v[6:7], v[6:7], s[0:1]
	global_store_dwordx4 v[16:17], v[4:7], off
	ds_read_b128 v[4:7], v172 offset:2688
	s_waitcnt vmcnt(2) lgkmcnt(1)
	v_mul_f64 v[12:13], v[20:21], v[10:11]
	v_fmac_f64_e32 v[12:13], v[18:19], v[8:9]
	v_mul_f64 v[8:9], v[20:21], v[8:9]
	v_fma_f64 v[8:9], v[18:19], v[10:11], -v[8:9]
	v_mul_f64 v[14:15], v[8:9], s[0:1]
	ds_read_b128 v[8:11], v172 offset:9632
	v_mad_u64_u32 v[20:21], s[8:9], s4, v2, v[16:17]
	v_mul_f64 v[12:13], v[12:13], s[0:1]
	v_add_u32_e32 v21, s6, v21
	global_store_dwordx4 v[20:21], v[12:15], off
	ds_read_b128 v[12:15], v172 offset:10528
	s_waitcnt vmcnt(2) lgkmcnt(1)
	v_mul_f64 v[16:17], v[24:25], v[10:11]
	v_fmac_f64_e32 v[16:17], v[22:23], v[8:9]
	v_mul_f64 v[8:9], v[24:25], v[8:9]
	v_fma_f64 v[18:19], v[22:23], v[10:11], -v[8:9]
	ds_read_b128 v[8:11], v172 offset:17472
	v_mul_f64 v[16:17], v[16:17], s[0:1]
	v_mul_f64 v[18:19], v[18:19], s[0:1]
	v_lshl_add_u64 v[24:25], v[20:21], 0, s[2:3]
	global_store_dwordx4 v[24:25], v[16:19], off
	ds_read_b128 v[16:19], v172 offset:18368
	s_waitcnt lgkmcnt(1)
	v_mul_f64 v[20:21], v[28:29], v[10:11]
	v_fmac_f64_e32 v[20:21], v[26:27], v[8:9]
	v_mul_f64 v[8:9], v[28:29], v[8:9]
	v_fma_f64 v[22:23], v[26:27], v[10:11], -v[8:9]
	ds_read_b128 v[8:11], v172 offset:25312
	v_mul_f64 v[20:21], v[20:21], s[0:1]
	v_mul_f64 v[22:23], v[22:23], s[0:1]
	v_lshl_add_u64 v[28:29], v[24:25], 0, s[2:3]
	global_store_dwordx4 v[28:29], v[20:23], off
	ds_read_b128 v[20:23], v172 offset:26208
	s_waitcnt lgkmcnt(1)
	v_mul_f64 v[24:25], v[32:33], v[10:11]
	v_fmac_f64_e32 v[24:25], v[30:31], v[8:9]
	v_mul_f64 v[8:9], v[32:33], v[8:9]
	v_fma_f64 v[8:9], v[30:31], v[10:11], -v[8:9]
	v_mul_f64 v[24:25], v[24:25], s[0:1]
	v_mul_f64 v[26:27], v[8:9], s[0:1]
	v_lshl_add_u64 v[28:29], v[28:29], 0, s[2:3]
	global_store_dwordx4 v[28:29], v[24:27], off
	scratch_load_dwordx4 v[24:27], off, off offset:400 ; 16-byte Folded Reload
	s_waitcnt vmcnt(0)
	v_mul_f64 v[8:9], v[26:27], v[6:7]
	v_fmac_f64_e32 v[8:9], v[24:25], v[4:5]
	v_mul_f64 v[4:5], v[26:27], v[4:5]
	v_fma_f64 v[4:5], v[24:25], v[6:7], -v[4:5]
	v_mad_u64_u32 v[24:25], s[8:9], s4, v2, v[28:29]
	v_mul_f64 v[8:9], v[8:9], s[0:1]
	v_mul_f64 v[10:11], v[4:5], s[0:1]
	v_add_u32_e32 v25, s6, v25
	global_store_dwordx4 v[24:25], v[8:11], off
	scratch_load_dwordx4 v[8:11], off, off offset:432 ; 16-byte Folded Reload
	s_waitcnt vmcnt(0)
	v_mul_f64 v[4:5], v[10:11], v[14:15]
	v_fmac_f64_e32 v[4:5], v[8:9], v[12:13]
	v_mul_f64 v[6:7], v[10:11], v[12:13]
	scratch_load_dwordx4 v[10:13], off, off offset:448 ; 16-byte Folded Reload
	v_fma_f64 v[6:7], v[8:9], v[14:15], -v[6:7]
	v_mul_f64 v[4:5], v[4:5], s[0:1]
	v_mul_f64 v[6:7], v[6:7], s[0:1]
	v_lshl_add_u64 v[8:9], v[24:25], 0, s[2:3]
	global_store_dwordx4 v[8:9], v[4:7], off
	scratch_load_dwordx4 v[26:29], off, off offset:336 ; 16-byte Folded Reload
	scratch_load_dwordx4 v[30:33], off, off offset:320 ; 16-byte Folded Reload
	s_waitcnt vmcnt(3)
	v_mul_f64 v[4:5], v[12:13], v[18:19]
	v_mul_f64 v[6:7], v[12:13], v[16:17]
	v_fmac_f64_e32 v[4:5], v[10:11], v[16:17]
	v_fma_f64 v[6:7], v[10:11], v[18:19], -v[6:7]
	v_lshl_add_u64 v[12:13], v[8:9], 0, s[2:3]
	scratch_load_dwordx4 v[8:11], off, off offset:496 ; 16-byte Folded Reload
	v_mul_f64 v[4:5], v[4:5], s[0:1]
	v_mul_f64 v[6:7], v[6:7], s[0:1]
	global_store_dwordx4 v[12:13], v[4:7], off
	v_lshl_add_u64 v[16:17], v[12:13], 0, s[2:3]
	s_waitcnt vmcnt(1) lgkmcnt(0)
	v_mul_f64 v[4:5], v[10:11], v[22:23]
	v_fmac_f64_e32 v[4:5], v[8:9], v[20:21]
	v_mul_f64 v[6:7], v[10:11], v[20:21]
	scratch_load_dwordx4 v[18:21], off, off offset:368 ; 16-byte Folded Reload
	v_fma_f64 v[6:7], v[8:9], v[22:23], -v[6:7]
	scratch_load_dwordx4 v[22:25], off, off offset:352 ; 16-byte Folded Reload
	ds_read_b128 v[8:11], v172 offset:3584
	v_mul_f64 v[4:5], v[4:5], s[0:1]
	v_mul_f64 v[6:7], v[6:7], s[0:1]
	global_store_dwordx4 v[16:17], v[4:7], off
	ds_read_b128 v[4:7], v172 offset:4480
	s_waitcnt vmcnt(2) lgkmcnt(1)
	v_mul_f64 v[12:13], v[20:21], v[10:11]
	v_fmac_f64_e32 v[12:13], v[18:19], v[8:9]
	v_mul_f64 v[8:9], v[20:21], v[8:9]
	v_fma_f64 v[8:9], v[18:19], v[10:11], -v[8:9]
	v_mul_f64 v[14:15], v[8:9], s[0:1]
	ds_read_b128 v[8:11], v172 offset:11424
	v_mad_u64_u32 v[20:21], s[8:9], s4, v2, v[16:17]
	v_mul_f64 v[12:13], v[12:13], s[0:1]
	v_add_u32_e32 v21, s6, v21
	global_store_dwordx4 v[20:21], v[12:15], off
	ds_read_b128 v[12:15], v172 offset:12320
	s_waitcnt vmcnt(2) lgkmcnt(1)
	v_mul_f64 v[16:17], v[24:25], v[10:11]
	v_fmac_f64_e32 v[16:17], v[22:23], v[8:9]
	v_mul_f64 v[8:9], v[24:25], v[8:9]
	v_fma_f64 v[18:19], v[22:23], v[10:11], -v[8:9]
	ds_read_b128 v[8:11], v172 offset:19264
	v_mul_f64 v[16:17], v[16:17], s[0:1]
	v_mul_f64 v[18:19], v[18:19], s[0:1]
	v_lshl_add_u64 v[24:25], v[20:21], 0, s[2:3]
	global_store_dwordx4 v[24:25], v[16:19], off
	ds_read_b128 v[16:19], v172 offset:20160
	s_waitcnt lgkmcnt(1)
	v_mul_f64 v[20:21], v[28:29], v[10:11]
	v_fmac_f64_e32 v[20:21], v[26:27], v[8:9]
	v_mul_f64 v[8:9], v[28:29], v[8:9]
	v_fma_f64 v[22:23], v[26:27], v[10:11], -v[8:9]
	ds_read_b128 v[8:11], v172 offset:27104
	v_mul_f64 v[20:21], v[20:21], s[0:1]
	v_mul_f64 v[22:23], v[22:23], s[0:1]
	v_lshl_add_u64 v[28:29], v[24:25], 0, s[2:3]
	global_store_dwordx4 v[28:29], v[20:23], off
	ds_read_b128 v[20:23], v172 offset:28000
	s_waitcnt lgkmcnt(1)
	v_mul_f64 v[24:25], v[32:33], v[10:11]
	v_fmac_f64_e32 v[24:25], v[30:31], v[8:9]
	v_mul_f64 v[8:9], v[32:33], v[8:9]
	v_fma_f64 v[8:9], v[30:31], v[10:11], -v[8:9]
	v_mul_f64 v[24:25], v[24:25], s[0:1]
	v_mul_f64 v[26:27], v[8:9], s[0:1]
	v_lshl_add_u64 v[28:29], v[28:29], 0, s[2:3]
	global_store_dwordx4 v[28:29], v[24:27], off
	scratch_load_dwordx4 v[24:27], off, off offset:304 ; 16-byte Folded Reload
	s_waitcnt vmcnt(0)
	v_mul_f64 v[8:9], v[26:27], v[6:7]
	v_fmac_f64_e32 v[8:9], v[24:25], v[4:5]
	v_mul_f64 v[4:5], v[26:27], v[4:5]
	v_fma_f64 v[4:5], v[24:25], v[6:7], -v[4:5]
	v_mad_u64_u32 v[24:25], s[8:9], s4, v2, v[28:29]
	v_mul_f64 v[8:9], v[8:9], s[0:1]
	v_mul_f64 v[10:11], v[4:5], s[0:1]
	v_add_u32_e32 v25, s6, v25
	global_store_dwordx4 v[24:25], v[8:11], off
	scratch_load_dwordx4 v[8:11], off, off offset:288 ; 16-byte Folded Reload
	s_waitcnt vmcnt(0)
	v_mul_f64 v[4:5], v[10:11], v[14:15]
	v_fmac_f64_e32 v[4:5], v[8:9], v[12:13]
	v_mul_f64 v[6:7], v[10:11], v[12:13]
	scratch_load_dwordx4 v[10:13], off, off offset:272 ; 16-byte Folded Reload
	v_fma_f64 v[6:7], v[8:9], v[14:15], -v[6:7]
	v_mul_f64 v[4:5], v[4:5], s[0:1]
	v_mul_f64 v[6:7], v[6:7], s[0:1]
	v_lshl_add_u64 v[8:9], v[24:25], 0, s[2:3]
	global_store_dwordx4 v[8:9], v[4:7], off
	scratch_load_dwordx4 v[26:29], off, off offset:192 ; 16-byte Folded Reload
	scratch_load_dwordx4 v[30:33], off, off offset:176 ; 16-byte Folded Reload
	s_waitcnt vmcnt(3)
	v_mul_f64 v[4:5], v[12:13], v[18:19]
	v_mul_f64 v[6:7], v[12:13], v[16:17]
	v_fmac_f64_e32 v[4:5], v[10:11], v[16:17]
	v_fma_f64 v[6:7], v[10:11], v[18:19], -v[6:7]
	v_lshl_add_u64 v[12:13], v[8:9], 0, s[2:3]
	scratch_load_dwordx4 v[8:11], off, off offset:256 ; 16-byte Folded Reload
	v_mul_f64 v[4:5], v[4:5], s[0:1]
	v_mul_f64 v[6:7], v[6:7], s[0:1]
	global_store_dwordx4 v[12:13], v[4:7], off
	v_lshl_add_u64 v[16:17], v[12:13], 0, s[2:3]
	s_waitcnt vmcnt(1) lgkmcnt(0)
	v_mul_f64 v[4:5], v[10:11], v[22:23]
	v_fmac_f64_e32 v[4:5], v[8:9], v[20:21]
	v_mul_f64 v[6:7], v[10:11], v[20:21]
	scratch_load_dwordx4 v[18:21], off, off offset:224 ; 16-byte Folded Reload
	v_fma_f64 v[6:7], v[8:9], v[22:23], -v[6:7]
	scratch_load_dwordx4 v[22:25], off, off offset:208 ; 16-byte Folded Reload
	ds_read_b128 v[8:11], v172 offset:5376
	v_mul_f64 v[4:5], v[4:5], s[0:1]
	v_mul_f64 v[6:7], v[6:7], s[0:1]
	global_store_dwordx4 v[16:17], v[4:7], off
	ds_read_b128 v[4:7], v172 offset:6272
	s_waitcnt vmcnt(2) lgkmcnt(1)
	v_mul_f64 v[12:13], v[20:21], v[10:11]
	v_fmac_f64_e32 v[12:13], v[18:19], v[8:9]
	v_mul_f64 v[8:9], v[20:21], v[8:9]
	v_fma_f64 v[8:9], v[18:19], v[10:11], -v[8:9]
	v_mul_f64 v[14:15], v[8:9], s[0:1]
	ds_read_b128 v[8:11], v172 offset:13216
	v_mad_u64_u32 v[20:21], s[8:9], s4, v2, v[16:17]
	v_mul_f64 v[12:13], v[12:13], s[0:1]
	v_add_u32_e32 v21, s6, v21
	global_store_dwordx4 v[20:21], v[12:15], off
	ds_read_b128 v[12:15], v172 offset:14112
	s_waitcnt vmcnt(2) lgkmcnt(1)
	v_mul_f64 v[16:17], v[24:25], v[10:11]
	v_fmac_f64_e32 v[16:17], v[22:23], v[8:9]
	v_mul_f64 v[8:9], v[24:25], v[8:9]
	v_fma_f64 v[18:19], v[22:23], v[10:11], -v[8:9]
	ds_read_b128 v[8:11], v172 offset:21056
	v_mul_f64 v[16:17], v[16:17], s[0:1]
	v_mul_f64 v[18:19], v[18:19], s[0:1]
	v_lshl_add_u64 v[24:25], v[20:21], 0, s[2:3]
	global_store_dwordx4 v[24:25], v[16:19], off
	ds_read_b128 v[16:19], v172 offset:21952
	s_waitcnt lgkmcnt(1)
	v_mul_f64 v[20:21], v[28:29], v[10:11]
	v_fmac_f64_e32 v[20:21], v[26:27], v[8:9]
	v_mul_f64 v[8:9], v[28:29], v[8:9]
	v_fma_f64 v[22:23], v[26:27], v[10:11], -v[8:9]
	ds_read_b128 v[8:11], v172 offset:28896
	v_mul_f64 v[20:21], v[20:21], s[0:1]
	v_mul_f64 v[22:23], v[22:23], s[0:1]
	v_lshl_add_u64 v[28:29], v[24:25], 0, s[2:3]
	global_store_dwordx4 v[28:29], v[20:23], off
	ds_read_b128 v[20:23], v172 offset:29792
	s_waitcnt lgkmcnt(1)
	v_mul_f64 v[24:25], v[32:33], v[10:11]
	v_fmac_f64_e32 v[24:25], v[30:31], v[8:9]
	v_mul_f64 v[8:9], v[32:33], v[8:9]
	v_fma_f64 v[8:9], v[30:31], v[10:11], -v[8:9]
	v_mul_f64 v[24:25], v[24:25], s[0:1]
	v_mul_f64 v[26:27], v[8:9], s[0:1]
	v_lshl_add_u64 v[28:29], v[28:29], 0, s[2:3]
	global_store_dwordx4 v[28:29], v[24:27], off
	scratch_load_dwordx4 v[24:27], off, off offset:156 ; 16-byte Folded Reload
	s_waitcnt vmcnt(0)
	v_mul_f64 v[8:9], v[26:27], v[6:7]
	v_fmac_f64_e32 v[8:9], v[24:25], v[4:5]
	v_mul_f64 v[4:5], v[26:27], v[4:5]
	v_fma_f64 v[4:5], v[24:25], v[6:7], -v[4:5]
	v_mad_u64_u32 v[6:7], s[8:9], s4, v2, v[28:29]
	v_mul_f64 v[8:9], v[8:9], s[0:1]
	v_mul_f64 v[10:11], v[4:5], s[0:1]
	v_add_u32_e32 v7, s6, v7
	global_store_dwordx4 v[6:7], v[8:11], off
	scratch_load_dwordx4 v[8:11], off, off offset:140 ; 16-byte Folded Reload
	v_lshl_add_u64 v[6:7], v[6:7], 0, s[2:3]
	s_waitcnt vmcnt(0)
	v_mul_f64 v[2:3], v[10:11], v[14:15]
	v_mul_f64 v[4:5], v[10:11], v[12:13]
	v_fmac_f64_e32 v[2:3], v[8:9], v[12:13]
	v_fma_f64 v[4:5], v[8:9], v[14:15], -v[4:5]
	scratch_load_dwordx4 v[8:11], off, off offset:108 ; 16-byte Folded Reload
	v_mul_f64 v[2:3], v[2:3], s[0:1]
	v_mul_f64 v[4:5], v[4:5], s[0:1]
	global_store_dwordx4 v[6:7], v[2:5], off
	s_waitcnt vmcnt(1)
	s_nop 0
	v_mul_f64 v[2:3], v[10:11], v[18:19]
	v_mul_f64 v[4:5], v[10:11], v[16:17]
	scratch_load_dwordx4 v[10:13], off, off offset:124 ; 16-byte Folded Reload
	v_fmac_f64_e32 v[2:3], v[8:9], v[16:17]
	v_fma_f64 v[4:5], v[8:9], v[18:19], -v[4:5]
	v_mul_f64 v[2:3], v[2:3], s[0:1]
	v_mul_f64 v[4:5], v[4:5], s[0:1]
	v_lshl_add_u64 v[8:9], v[6:7], 0, s[2:3]
	global_store_dwordx4 v[8:9], v[2:5], off
	s_waitcnt vmcnt(1) lgkmcnt(0)
	s_nop 0
	v_mul_f64 v[2:3], v[12:13], v[22:23]
	v_fmac_f64_e32 v[2:3], v[10:11], v[20:21]
	v_mul_f64 v[4:5], v[2:3], s[0:1]
	v_mul_f64 v[2:3], v[12:13], v[20:21]
	v_fma_f64 v[2:3], v[10:11], v[22:23], -v[2:3]
	v_mul_f64 v[6:7], v[2:3], s[0:1]
	v_lshl_add_u64 v[2:3], v[8:9], 0, s[2:3]
	global_store_dwordx4 v[2:3], v[4:7], off
	s_and_b64 exec, exec, vcc
	s_cbranch_execz .LBB0_23
; %bb.22:
	scratch_load_dword v4, off, off offset:8 ; 4-byte Folded Reload
	v_accvgpr_read_b32 v24, a84
	v_mad_u64_u32 v[16:17], s[6:7], s4, v24, 0
	s_movk_i32 s6, 0x3000
	v_mov_b32_e32 v18, v17
	s_movk_i32 s8, 0x5000
	s_waitcnt vmcnt(0)
	global_load_dwordx4 v[4:7], v4, s[16:17]
	ds_read_b128 v[8:11], v172 offset:7168
	ds_read_b128 v[12:15], v172 offset:15008
	scratch_load_dwordx2 v[22:23], off, off offset:608 ; 8-byte Folded Reload
	s_waitcnt vmcnt(0)
	v_add_co_u32_e32 v20, vcc, s6, v22
	v_mad_u64_u32 v[18:19], s[6:7], s5, v24, v[18:19]
	v_mov_b32_e32 v17, v18
	v_lshl_add_u64 v[0:1], v[16:17], 4, v[0:1]
	s_waitcnt lgkmcnt(1)
	v_mul_f64 v[16:17], v[10:11], v[6:7]
	v_mul_f64 v[6:7], v[8:9], v[6:7]
	v_fmac_f64_e32 v[16:17], v[8:9], v[4:5]
	v_fma_f64 v[6:7], v[4:5], v[10:11], -v[6:7]
	v_mul_f64 v[4:5], v[16:17], s[0:1]
	v_mul_f64 v[6:7], v[6:7], s[0:1]
	v_addc_co_u32_e32 v21, vcc, 0, v23, vcc
	global_store_dwordx4 v[0:1], v[4:7], off
	global_load_dwordx4 v[4:7], v[20:21], off offset:2720
	v_mov_b32_e32 v0, 0xffffc640
	s_mulk_i32 s5, 0xc640
	v_mad_u64_u32 v[16:17], s[6:7], s4, v0, v[2:3]
	s_sub_i32 s4, s5, s4
	v_add_co_u32_e32 v8, vcc, s8, v22
	v_add_u32_e32 v17, s4, v17
	s_nop 0
	v_addc_co_u32_e32 v9, vcc, 0, v23, vcc
	s_movk_i32 s4, 0x7000
	s_waitcnt vmcnt(0) lgkmcnt(0)
	v_mul_f64 v[0:1], v[14:15], v[6:7]
	v_mul_f64 v[2:3], v[12:13], v[6:7]
	v_fmac_f64_e32 v[0:1], v[12:13], v[4:5]
	v_fma_f64 v[2:3], v[4:5], v[14:15], -v[2:3]
	v_mul_f64 v[0:1], v[0:1], s[0:1]
	v_mul_f64 v[2:3], v[2:3], s[0:1]
	global_store_dwordx4 v[16:17], v[0:3], off
	global_load_dwordx4 v[0:3], v[8:9], off offset:2368
	ds_read_b128 v[4:7], v172 offset:22848
	ds_read_b128 v[8:11], v172 offset:30688
	v_lshl_add_u64 v[14:15], v[16:17], 0, s[2:3]
	v_add_co_u32_e32 v12, vcc, s4, v22
	s_waitcnt vmcnt(0) lgkmcnt(1)
	v_mul_f64 v[16:17], v[6:7], v[2:3]
	v_mul_f64 v[2:3], v[4:5], v[2:3]
	v_fmac_f64_e32 v[16:17], v[4:5], v[0:1]
	v_fma_f64 v[2:3], v[0:1], v[6:7], -v[2:3]
	v_mul_f64 v[0:1], v[16:17], s[0:1]
	v_mul_f64 v[2:3], v[2:3], s[0:1]
	v_addc_co_u32_e32 v13, vcc, 0, v23, vcc
	global_store_dwordx4 v[14:15], v[0:3], off
	global_load_dwordx4 v[0:3], v[12:13], off offset:2016
	s_waitcnt vmcnt(0) lgkmcnt(0)
	v_mul_f64 v[4:5], v[10:11], v[2:3]
	v_mul_f64 v[2:3], v[8:9], v[2:3]
	v_fmac_f64_e32 v[4:5], v[8:9], v[0:1]
	v_fma_f64 v[2:3], v[0:1], v[10:11], -v[2:3]
	v_mul_f64 v[0:1], v[4:5], s[0:1]
	v_mul_f64 v[2:3], v[2:3], s[0:1]
	v_lshl_add_u64 v[4:5], v[14:15], 0, s[2:3]
	global_store_dwordx4 v[4:5], v[0:3], off
.LBB0_23:
	s_endpgm
	.section	.rodata,"a",@progbits
	.p2align	6, 0x0
	.amdhsa_kernel bluestein_single_fwd_len1960_dim1_dp_op_CI_CI
		.amdhsa_group_segment_fixed_size 31360
		.amdhsa_private_segment_fixed_size 620
		.amdhsa_kernarg_size 104
		.amdhsa_user_sgpr_count 2
		.amdhsa_user_sgpr_dispatch_ptr 0
		.amdhsa_user_sgpr_queue_ptr 0
		.amdhsa_user_sgpr_kernarg_segment_ptr 1
		.amdhsa_user_sgpr_dispatch_id 0
		.amdhsa_user_sgpr_kernarg_preload_length 0
		.amdhsa_user_sgpr_kernarg_preload_offset 0
		.amdhsa_user_sgpr_private_segment_size 0
		.amdhsa_uses_dynamic_stack 0
		.amdhsa_enable_private_segment 1
		.amdhsa_system_sgpr_workgroup_id_x 1
		.amdhsa_system_sgpr_workgroup_id_y 0
		.amdhsa_system_sgpr_workgroup_id_z 0
		.amdhsa_system_sgpr_workgroup_info 0
		.amdhsa_system_vgpr_workitem_id 0
		.amdhsa_next_free_vgpr 512
		.amdhsa_next_free_sgpr 32
		.amdhsa_accum_offset 256
		.amdhsa_reserve_vcc 1
		.amdhsa_float_round_mode_32 0
		.amdhsa_float_round_mode_16_64 0
		.amdhsa_float_denorm_mode_32 3
		.amdhsa_float_denorm_mode_16_64 3
		.amdhsa_dx10_clamp 1
		.amdhsa_ieee_mode 1
		.amdhsa_fp16_overflow 0
		.amdhsa_tg_split 0
		.amdhsa_exception_fp_ieee_invalid_op 0
		.amdhsa_exception_fp_denorm_src 0
		.amdhsa_exception_fp_ieee_div_zero 0
		.amdhsa_exception_fp_ieee_overflow 0
		.amdhsa_exception_fp_ieee_underflow 0
		.amdhsa_exception_fp_ieee_inexact 0
		.amdhsa_exception_int_div_zero 0
	.end_amdhsa_kernel
	.text
.Lfunc_end0:
	.size	bluestein_single_fwd_len1960_dim1_dp_op_CI_CI, .Lfunc_end0-bluestein_single_fwd_len1960_dim1_dp_op_CI_CI
                                        ; -- End function
	.section	.AMDGPU.csdata,"",@progbits
; Kernel info:
; codeLenInByte = 49256
; NumSgprs: 38
; NumVgprs: 256
; NumAgprs: 256
; TotalNumVgprs: 512
; ScratchSize: 620
; MemoryBound: 0
; FloatMode: 240
; IeeeMode: 1
; LDSByteSize: 31360 bytes/workgroup (compile time only)
; SGPRBlocks: 4
; VGPRBlocks: 63
; NumSGPRsForWavesPerEU: 38
; NumVGPRsForWavesPerEU: 512
; AccumOffset: 256
; Occupancy: 1
; WaveLimiterHint : 1
; COMPUTE_PGM_RSRC2:SCRATCH_EN: 1
; COMPUTE_PGM_RSRC2:USER_SGPR: 2
; COMPUTE_PGM_RSRC2:TRAP_HANDLER: 0
; COMPUTE_PGM_RSRC2:TGID_X_EN: 1
; COMPUTE_PGM_RSRC2:TGID_Y_EN: 0
; COMPUTE_PGM_RSRC2:TGID_Z_EN: 0
; COMPUTE_PGM_RSRC2:TIDIG_COMP_CNT: 0
; COMPUTE_PGM_RSRC3_GFX90A:ACCUM_OFFSET: 63
; COMPUTE_PGM_RSRC3_GFX90A:TG_SPLIT: 0
	.text
	.p2alignl 6, 3212836864
	.fill 256, 4, 3212836864
	.type	__hip_cuid_9bf16847dfa9c8c7,@object ; @__hip_cuid_9bf16847dfa9c8c7
	.section	.bss,"aw",@nobits
	.globl	__hip_cuid_9bf16847dfa9c8c7
__hip_cuid_9bf16847dfa9c8c7:
	.byte	0                               ; 0x0
	.size	__hip_cuid_9bf16847dfa9c8c7, 1

	.ident	"AMD clang version 19.0.0git (https://github.com/RadeonOpenCompute/llvm-project roc-6.4.0 25133 c7fe45cf4b819c5991fe208aaa96edf142730f1d)"
	.section	".note.GNU-stack","",@progbits
	.addrsig
	.addrsig_sym __hip_cuid_9bf16847dfa9c8c7
	.amdgpu_metadata
---
amdhsa.kernels:
  - .agpr_count:     256
    .args:
      - .actual_access:  read_only
        .address_space:  global
        .offset:         0
        .size:           8
        .value_kind:     global_buffer
      - .actual_access:  read_only
        .address_space:  global
        .offset:         8
        .size:           8
        .value_kind:     global_buffer
      - .actual_access:  read_only
        .address_space:  global
        .offset:         16
        .size:           8
        .value_kind:     global_buffer
      - .actual_access:  read_only
        .address_space:  global
        .offset:         24
        .size:           8
        .value_kind:     global_buffer
      - .actual_access:  read_only
        .address_space:  global
        .offset:         32
        .size:           8
        .value_kind:     global_buffer
      - .offset:         40
        .size:           8
        .value_kind:     by_value
      - .address_space:  global
        .offset:         48
        .size:           8
        .value_kind:     global_buffer
      - .address_space:  global
        .offset:         56
        .size:           8
        .value_kind:     global_buffer
      - .address_space:  global
        .offset:         64
        .size:           8
        .value_kind:     global_buffer
      - .address_space:  global
        .offset:         72
        .size:           8
        .value_kind:     global_buffer
      - .offset:         80
        .size:           4
        .value_kind:     by_value
      - .address_space:  global
        .offset:         88
        .size:           8
        .value_kind:     global_buffer
      - .address_space:  global
        .offset:         96
        .size:           8
        .value_kind:     global_buffer
    .group_segment_fixed_size: 31360
    .kernarg_segment_align: 8
    .kernarg_segment_size: 104
    .language:       OpenCL C
    .language_version:
      - 2
      - 0
    .max_flat_workgroup_size: 56
    .name:           bluestein_single_fwd_len1960_dim1_dp_op_CI_CI
    .private_segment_fixed_size: 620
    .sgpr_count:     38
    .sgpr_spill_count: 0
    .symbol:         bluestein_single_fwd_len1960_dim1_dp_op_CI_CI.kd
    .uniform_work_group_size: 1
    .uses_dynamic_stack: false
    .vgpr_count:     512
    .vgpr_spill_count: 154
    .wavefront_size: 64
amdhsa.target:   amdgcn-amd-amdhsa--gfx950
amdhsa.version:
  - 1
  - 2
...

	.end_amdgpu_metadata
